;; amdgpu-corpus repo=ROCm/rocFFT kind=compiled arch=gfx906 opt=O3
	.text
	.amdgcn_target "amdgcn-amd-amdhsa--gfx906"
	.amdhsa_code_object_version 6
	.protected	fft_rtc_back_len2700_factors_3_10_10_3_3_wgs_90_tpt_90_halfLds_dp_ip_CI_sbrr_dirReg ; -- Begin function fft_rtc_back_len2700_factors_3_10_10_3_3_wgs_90_tpt_90_halfLds_dp_ip_CI_sbrr_dirReg
	.globl	fft_rtc_back_len2700_factors_3_10_10_3_3_wgs_90_tpt_90_halfLds_dp_ip_CI_sbrr_dirReg
	.p2align	8
	.type	fft_rtc_back_len2700_factors_3_10_10_3_3_wgs_90_tpt_90_halfLds_dp_ip_CI_sbrr_dirReg,@function
fft_rtc_back_len2700_factors_3_10_10_3_3_wgs_90_tpt_90_halfLds_dp_ip_CI_sbrr_dirReg: ; @fft_rtc_back_len2700_factors_3_10_10_3_3_wgs_90_tpt_90_halfLds_dp_ip_CI_sbrr_dirReg
; %bb.0:
	s_load_dwordx2 s[14:15], s[4:5], 0x18
	s_load_dwordx4 s[8:11], s[4:5], 0x0
	s_load_dwordx2 s[12:13], s[4:5], 0x50
	v_mul_u32_u24_e32 v1, 0x2d9, v0
	v_add_u32_sdwa v5, s6, v1 dst_sel:DWORD dst_unused:UNUSED_PAD src0_sel:DWORD src1_sel:WORD_1
	s_waitcnt lgkmcnt(0)
	s_load_dwordx2 s[2:3], s[14:15], 0x0
	v_cmp_lt_u64_e64 s[0:1], s[10:11], 2
	v_mov_b32_e32 v3, 0
	v_mov_b32_e32 v1, 0
	;; [unrolled: 1-line block ×3, first 2 shown]
	s_and_b64 vcc, exec, s[0:1]
	v_mov_b32_e32 v2, 0
	s_cbranch_vccnz .LBB0_8
; %bb.1:
	s_load_dwordx2 s[0:1], s[4:5], 0x10
	s_add_u32 s6, s14, 8
	s_addc_u32 s7, s15, 0
	v_mov_b32_e32 v1, 0
	v_mov_b32_e32 v2, 0
	s_waitcnt lgkmcnt(0)
	s_add_u32 s16, s0, 8
	s_addc_u32 s17, s1, 0
	s_mov_b64 s[18:19], 1
.LBB0_2:                                ; =>This Inner Loop Header: Depth=1
	s_load_dwordx2 s[20:21], s[16:17], 0x0
                                        ; implicit-def: $vgpr7_vgpr8
	s_waitcnt lgkmcnt(0)
	v_or_b32_e32 v4, s21, v6
	v_cmp_ne_u64_e32 vcc, 0, v[3:4]
	s_and_saveexec_b64 s[0:1], vcc
	s_xor_b64 s[22:23], exec, s[0:1]
	s_cbranch_execz .LBB0_4
; %bb.3:                                ;   in Loop: Header=BB0_2 Depth=1
	v_cvt_f32_u32_e32 v4, s20
	v_cvt_f32_u32_e32 v7, s21
	s_sub_u32 s0, 0, s20
	s_subb_u32 s1, 0, s21
	v_mac_f32_e32 v4, 0x4f800000, v7
	v_rcp_f32_e32 v4, v4
	v_mul_f32_e32 v4, 0x5f7ffffc, v4
	v_mul_f32_e32 v7, 0x2f800000, v4
	v_trunc_f32_e32 v7, v7
	v_mac_f32_e32 v4, 0xcf800000, v7
	v_cvt_u32_f32_e32 v7, v7
	v_cvt_u32_f32_e32 v4, v4
	v_mul_lo_u32 v8, s0, v7
	v_mul_hi_u32 v9, s0, v4
	v_mul_lo_u32 v11, s1, v4
	v_mul_lo_u32 v10, s0, v4
	v_add_u32_e32 v8, v9, v8
	v_add_u32_e32 v8, v8, v11
	v_mul_hi_u32 v9, v4, v10
	v_mul_lo_u32 v11, v4, v8
	v_mul_hi_u32 v13, v4, v8
	v_mul_hi_u32 v12, v7, v10
	v_mul_lo_u32 v10, v7, v10
	v_mul_hi_u32 v14, v7, v8
	v_add_co_u32_e32 v9, vcc, v9, v11
	v_addc_co_u32_e32 v11, vcc, 0, v13, vcc
	v_mul_lo_u32 v8, v7, v8
	v_add_co_u32_e32 v9, vcc, v9, v10
	v_addc_co_u32_e32 v9, vcc, v11, v12, vcc
	v_addc_co_u32_e32 v10, vcc, 0, v14, vcc
	v_add_co_u32_e32 v8, vcc, v9, v8
	v_addc_co_u32_e32 v9, vcc, 0, v10, vcc
	v_add_co_u32_e32 v4, vcc, v4, v8
	v_addc_co_u32_e32 v7, vcc, v7, v9, vcc
	v_mul_lo_u32 v8, s0, v7
	v_mul_hi_u32 v9, s0, v4
	v_mul_lo_u32 v10, s1, v4
	v_mul_lo_u32 v11, s0, v4
	v_add_u32_e32 v8, v9, v8
	v_add_u32_e32 v8, v8, v10
	v_mul_lo_u32 v12, v4, v8
	v_mul_hi_u32 v13, v4, v11
	v_mul_hi_u32 v14, v4, v8
	;; [unrolled: 1-line block ×3, first 2 shown]
	v_mul_lo_u32 v11, v7, v11
	v_mul_hi_u32 v9, v7, v8
	v_add_co_u32_e32 v12, vcc, v13, v12
	v_addc_co_u32_e32 v13, vcc, 0, v14, vcc
	v_mul_lo_u32 v8, v7, v8
	v_add_co_u32_e32 v11, vcc, v12, v11
	v_addc_co_u32_e32 v10, vcc, v13, v10, vcc
	v_addc_co_u32_e32 v9, vcc, 0, v9, vcc
	v_add_co_u32_e32 v8, vcc, v10, v8
	v_addc_co_u32_e32 v9, vcc, 0, v9, vcc
	v_add_co_u32_e32 v4, vcc, v4, v8
	v_addc_co_u32_e32 v9, vcc, v7, v9, vcc
	v_mad_u64_u32 v[7:8], s[0:1], v5, v9, 0
	v_mul_hi_u32 v10, v5, v4
	v_add_co_u32_e32 v11, vcc, v10, v7
	v_addc_co_u32_e32 v12, vcc, 0, v8, vcc
	v_mad_u64_u32 v[7:8], s[0:1], v6, v4, 0
	v_mad_u64_u32 v[9:10], s[0:1], v6, v9, 0
	v_add_co_u32_e32 v4, vcc, v11, v7
	v_addc_co_u32_e32 v4, vcc, v12, v8, vcc
	v_addc_co_u32_e32 v7, vcc, 0, v10, vcc
	v_add_co_u32_e32 v4, vcc, v4, v9
	v_addc_co_u32_e32 v9, vcc, 0, v7, vcc
	v_mul_lo_u32 v10, s21, v4
	v_mul_lo_u32 v11, s20, v9
	v_mad_u64_u32 v[7:8], s[0:1], s20, v4, 0
	v_add3_u32 v8, v8, v11, v10
	v_sub_u32_e32 v10, v6, v8
	v_mov_b32_e32 v11, s21
	v_sub_co_u32_e32 v7, vcc, v5, v7
	v_subb_co_u32_e64 v10, s[0:1], v10, v11, vcc
	v_subrev_co_u32_e64 v11, s[0:1], s20, v7
	v_subbrev_co_u32_e64 v10, s[0:1], 0, v10, s[0:1]
	v_cmp_le_u32_e64 s[0:1], s21, v10
	v_cndmask_b32_e64 v12, 0, -1, s[0:1]
	v_cmp_le_u32_e64 s[0:1], s20, v11
	v_cndmask_b32_e64 v11, 0, -1, s[0:1]
	v_cmp_eq_u32_e64 s[0:1], s21, v10
	v_cndmask_b32_e64 v10, v12, v11, s[0:1]
	v_add_co_u32_e64 v11, s[0:1], 2, v4
	v_addc_co_u32_e64 v12, s[0:1], 0, v9, s[0:1]
	v_add_co_u32_e64 v13, s[0:1], 1, v4
	v_addc_co_u32_e64 v14, s[0:1], 0, v9, s[0:1]
	v_subb_co_u32_e32 v8, vcc, v6, v8, vcc
	v_cmp_ne_u32_e64 s[0:1], 0, v10
	v_cmp_le_u32_e32 vcc, s21, v8
	v_cndmask_b32_e64 v10, v14, v12, s[0:1]
	v_cndmask_b32_e64 v12, 0, -1, vcc
	v_cmp_le_u32_e32 vcc, s20, v7
	v_cndmask_b32_e64 v7, 0, -1, vcc
	v_cmp_eq_u32_e32 vcc, s21, v8
	v_cndmask_b32_e32 v7, v12, v7, vcc
	v_cmp_ne_u32_e32 vcc, 0, v7
	v_cndmask_b32_e64 v7, v13, v11, s[0:1]
	v_cndmask_b32_e32 v8, v9, v10, vcc
	v_cndmask_b32_e32 v7, v4, v7, vcc
.LBB0_4:                                ;   in Loop: Header=BB0_2 Depth=1
	s_andn2_saveexec_b64 s[0:1], s[22:23]
	s_cbranch_execz .LBB0_6
; %bb.5:                                ;   in Loop: Header=BB0_2 Depth=1
	v_cvt_f32_u32_e32 v4, s20
	s_sub_i32 s22, 0, s20
	v_rcp_iflag_f32_e32 v4, v4
	v_mul_f32_e32 v4, 0x4f7ffffe, v4
	v_cvt_u32_f32_e32 v4, v4
	v_mul_lo_u32 v7, s22, v4
	v_mul_hi_u32 v7, v4, v7
	v_add_u32_e32 v4, v4, v7
	v_mul_hi_u32 v4, v5, v4
	v_mul_lo_u32 v7, v4, s20
	v_add_u32_e32 v8, 1, v4
	v_sub_u32_e32 v7, v5, v7
	v_subrev_u32_e32 v9, s20, v7
	v_cmp_le_u32_e32 vcc, s20, v7
	v_cndmask_b32_e32 v7, v7, v9, vcc
	v_cndmask_b32_e32 v4, v4, v8, vcc
	v_add_u32_e32 v8, 1, v4
	v_cmp_le_u32_e32 vcc, s20, v7
	v_cndmask_b32_e32 v7, v4, v8, vcc
	v_mov_b32_e32 v8, v3
.LBB0_6:                                ;   in Loop: Header=BB0_2 Depth=1
	s_or_b64 exec, exec, s[0:1]
	v_mul_lo_u32 v4, v8, s20
	v_mul_lo_u32 v11, v7, s21
	v_mad_u64_u32 v[9:10], s[0:1], v7, s20, 0
	s_load_dwordx2 s[0:1], s[6:7], 0x0
	s_add_u32 s18, s18, 1
	v_add3_u32 v4, v10, v11, v4
	v_sub_co_u32_e32 v5, vcc, v5, v9
	v_subb_co_u32_e32 v4, vcc, v6, v4, vcc
	s_waitcnt lgkmcnt(0)
	v_mul_lo_u32 v4, s0, v4
	v_mul_lo_u32 v6, s1, v5
	v_mad_u64_u32 v[1:2], s[0:1], s0, v5, v[1:2]
	s_addc_u32 s19, s19, 0
	s_add_u32 s6, s6, 8
	v_add3_u32 v2, v6, v2, v4
	v_mov_b32_e32 v4, s10
	v_mov_b32_e32 v5, s11
	s_addc_u32 s7, s7, 0
	v_cmp_ge_u64_e32 vcc, s[18:19], v[4:5]
	s_add_u32 s16, s16, 8
	s_addc_u32 s17, s17, 0
	s_cbranch_vccnz .LBB0_9
; %bb.7:                                ;   in Loop: Header=BB0_2 Depth=1
	v_mov_b32_e32 v5, v7
	v_mov_b32_e32 v6, v8
	s_branch .LBB0_2
.LBB0_8:
	v_mov_b32_e32 v8, v6
	v_mov_b32_e32 v7, v5
.LBB0_9:
	s_lshl_b64 s[0:1], s[10:11], 3
	s_add_u32 s0, s14, s0
	s_addc_u32 s1, s15, s1
	s_load_dwordx2 s[6:7], s[0:1], 0x0
	s_load_dwordx2 s[10:11], s[4:5], 0x20
                                        ; implicit-def: $vgpr130
                                        ; implicit-def: $vgpr131
                                        ; implicit-def: $vgpr123
                                        ; implicit-def: $vgpr124
                                        ; implicit-def: $vgpr125
                                        ; implicit-def: $vgpr126
                                        ; implicit-def: $vgpr127
                                        ; implicit-def: $vgpr128
                                        ; implicit-def: $vgpr129
	s_waitcnt lgkmcnt(0)
	v_mad_u64_u32 v[1:2], s[0:1], s6, v7, v[1:2]
	s_mov_b32 s0, 0x2d82d83
	v_mul_lo_u32 v3, s6, v8
	v_mul_lo_u32 v4, s7, v7
	v_mul_hi_u32 v5, v0, s0
	v_cmp_gt_u64_e32 vcc, s[10:11], v[7:8]
	v_cmp_le_u64_e64 s[0:1], s[10:11], v[7:8]
	v_add3_u32 v2, v4, v2, v3
	v_mul_u32_u24_e32 v3, 0x5a, v5
	v_sub_u32_e32 v122, v0, v3
	s_and_saveexec_b64 s[4:5], s[0:1]
	s_xor_b64 s[0:1], exec, s[4:5]
; %bb.10:
	v_add_u32_e32 v130, 0x5a, v122
	v_add_u32_e32 v131, 0xb4, v122
	v_add_u32_e32 v123, 0x10e, v122
	v_add_u32_e32 v124, 0x168, v122
	v_add_u32_e32 v125, 0x1c2, v122
	v_add_u32_e32 v126, 0x21c, v122
	v_add_u32_e32 v127, 0x276, v122
	v_add_u32_e32 v128, 0x2d0, v122
	v_add_u32_e32 v129, 0x32a, v122
; %bb.11:
	s_or_saveexec_b64 s[4:5], s[0:1]
	v_lshlrev_b64 v[120:121], 4, v[1:2]
                                        ; implicit-def: $vgpr2_vgpr3
                                        ; implicit-def: $vgpr10_vgpr11
                                        ; implicit-def: $vgpr14_vgpr15
                                        ; implicit-def: $vgpr6_vgpr7
                                        ; implicit-def: $vgpr18_vgpr19
                                        ; implicit-def: $vgpr22_vgpr23
                                        ; implicit-def: $vgpr26_vgpr27
                                        ; implicit-def: $vgpr30_vgpr31
                                        ; implicit-def: $vgpr34_vgpr35
                                        ; implicit-def: $vgpr38_vgpr39
                                        ; implicit-def: $vgpr42_vgpr43
                                        ; implicit-def: $vgpr46_vgpr47
                                        ; implicit-def: $vgpr50_vgpr51
                                        ; implicit-def: $vgpr54_vgpr55
                                        ; implicit-def: $vgpr58_vgpr59
                                        ; implicit-def: $vgpr62_vgpr63
                                        ; implicit-def: $vgpr66_vgpr67
                                        ; implicit-def: $vgpr70_vgpr71
                                        ; implicit-def: $vgpr74_vgpr75
                                        ; implicit-def: $vgpr78_vgpr79
                                        ; implicit-def: $vgpr82_vgpr83
                                        ; implicit-def: $vgpr86_vgpr87
                                        ; implicit-def: $vgpr90_vgpr91
                                        ; implicit-def: $vgpr94_vgpr95
                                        ; implicit-def: $vgpr98_vgpr99
                                        ; implicit-def: $vgpr102_vgpr103
                                        ; implicit-def: $vgpr106_vgpr107
                                        ; implicit-def: $vgpr114_vgpr115
                                        ; implicit-def: $vgpr118_vgpr119
                                        ; implicit-def: $vgpr110_vgpr111
	s_xor_b64 exec, exec, s[4:5]
	s_cbranch_execz .LBB0_13
; %bb.12:
	v_mad_u64_u32 v[0:1], s[0:1], s2, v122, 0
	v_add_u32_e32 v5, 0x384, v122
	v_mov_b32_e32 v4, s13
	v_mad_u64_u32 v[1:2], s[0:1], s3, v122, v[1:2]
	v_mad_u64_u32 v[2:3], s[0:1], s2, v5, 0
	v_add_co_u32_e64 v18, s[0:1], s12, v120
	v_addc_co_u32_e64 v19, s[0:1], v4, v121, s[0:1]
	v_mad_u64_u32 v[3:4], s[0:1], s3, v5, v[3:4]
	v_add_u32_e32 v5, 0x708, v122
	v_mad_u64_u32 v[6:7], s[0:1], s2, v5, 0
	v_lshlrev_b64 v[0:1], 4, v[0:1]
	v_add_u32_e32 v130, 0x5a, v122
	v_add_co_u32_e64 v0, s[0:1], v18, v0
	v_mov_b32_e32 v4, v7
	v_addc_co_u32_e64 v1, s[0:1], v19, v1, s[0:1]
	v_mad_u64_u32 v[7:8], s[0:1], s3, v5, v[4:5]
	v_mad_u64_u32 v[8:9], s[0:1], s2, v130, 0
	v_lshlrev_b64 v[2:3], 4, v[2:3]
	v_add_u32_e32 v12, 0x3de, v122
	v_add_co_u32_e64 v4, s[0:1], v18, v2
	v_addc_co_u32_e64 v5, s[0:1], v19, v3, s[0:1]
	v_lshlrev_b64 v[2:3], 4, v[6:7]
	v_mov_b32_e32 v6, v9
	v_mad_u64_u32 v[6:7], s[0:1], s3, v130, v[6:7]
	v_mad_u64_u32 v[10:11], s[0:1], s2, v12, 0
	v_mov_b32_e32 v9, v6
	v_add_co_u32_e64 v2, s[0:1], v18, v2
	v_lshlrev_b64 v[6:7], 4, v[8:9]
	v_mov_b32_e32 v8, v11
	v_addc_co_u32_e64 v3, s[0:1], v19, v3, s[0:1]
	v_mad_u64_u32 v[8:9], s[0:1], s3, v12, v[8:9]
	v_add_u32_e32 v14, 0x762, v122
	v_mad_u64_u32 v[12:13], s[0:1], s2, v14, 0
	v_mov_b32_e32 v11, v8
	v_add_co_u32_e64 v6, s[0:1], v18, v6
	v_lshlrev_b64 v[8:9], 4, v[10:11]
	v_mov_b32_e32 v10, v13
	v_addc_co_u32_e64 v7, s[0:1], v19, v7, s[0:1]
	v_mad_u64_u32 v[10:11], s[0:1], s3, v14, v[10:11]
	v_add_u32_e32 v131, 0xb4, v122
	;; [unrolled: 8-line block ×15, first 2 shown]
	v_mad_u64_u32 v[42:43], s[0:1], s2, v39, 0
	v_add_co_u32_e64 v132, s[0:1], v18, v36
	v_mov_b32_e32 v41, v38
	v_mov_b32_e32 v38, v43
	v_addc_co_u32_e64 v133, s[0:1], v19, v37, s[0:1]
	v_lshlrev_b64 v[36:37], 4, v[40:41]
	v_mad_u64_u32 v[38:39], s[0:1], s3, v39, v[38:39]
	v_add_u32_e32 v41, 0x924, v122
	v_mad_u64_u32 v[39:40], s[0:1], s2, v41, 0
	v_add_co_u32_e64 v134, s[0:1], v18, v36
	v_mov_b32_e32 v43, v38
	v_mov_b32_e32 v38, v40
	v_addc_co_u32_e64 v135, s[0:1], v19, v37, s[0:1]
	v_mad_u64_u32 v[40:41], s[0:1], s3, v41, v[38:39]
	v_add_u32_e32 v127, 0x276, v122
	v_lshlrev_b64 v[36:37], 4, v[42:43]
	v_mad_u64_u32 v[41:42], s[0:1], s2, v127, 0
	v_add_co_u32_e64 v136, s[0:1], v18, v36
	v_mov_b32_e32 v38, v42
	v_addc_co_u32_e64 v137, s[0:1], v19, v37, s[0:1]
	v_lshlrev_b64 v[36:37], 4, v[39:40]
	v_mad_u64_u32 v[38:39], s[0:1], s3, v127, v[38:39]
	v_add_u32_e32 v43, 0x5fa, v122
	v_mad_u64_u32 v[39:40], s[0:1], s2, v43, 0
	v_add_co_u32_e64 v138, s[0:1], v18, v36
	v_mov_b32_e32 v42, v38
	v_mov_b32_e32 v38, v40
	v_addc_co_u32_e64 v139, s[0:1], v19, v37, s[0:1]
	v_lshlrev_b64 v[36:37], 4, v[41:42]
	v_mad_u64_u32 v[40:41], s[0:1], s3, v43, v[38:39]
	v_add_u32_e32 v43, 0x97e, v122
	v_mad_u64_u32 v[41:42], s[0:1], s2, v43, 0
	v_add_co_u32_e64 v140, s[0:1], v18, v36
	v_mov_b32_e32 v38, v42
	v_addc_co_u32_e64 v141, s[0:1], v19, v37, s[0:1]
	v_lshlrev_b64 v[36:37], 4, v[39:40]
	v_mad_u64_u32 v[38:39], s[0:1], s3, v43, v[38:39]
	v_add_u32_e32 v128, 0x2d0, v122
	v_mad_u64_u32 v[39:40], s[0:1], s2, v128, 0
	v_add_co_u32_e64 v142, s[0:1], v18, v36
	v_mov_b32_e32 v42, v38
	v_mov_b32_e32 v38, v40
	v_addc_co_u32_e64 v143, s[0:1], v19, v37, s[0:1]
	v_lshlrev_b64 v[36:37], 4, v[41:42]
	v_mad_u64_u32 v[40:41], s[0:1], s3, v128, v[38:39]
	v_add_u32_e32 v43, 0x654, v122
	;; [unrolled: 15-line block ×4, first 2 shown]
	v_mad_u64_u32 v[41:42], s[0:1], s2, v43, 0
	v_add_co_u32_e64 v152, s[0:1], v18, v36
	v_mov_b32_e32 v38, v42
	v_addc_co_u32_e64 v153, s[0:1], v19, v37, s[0:1]
	v_lshlrev_b64 v[36:37], 4, v[39:40]
	v_mad_u64_u32 v[38:39], s[0:1], s3, v43, v[38:39]
	v_add_co_u32_e64 v154, s[0:1], v18, v36
	v_mov_b32_e32 v42, v38
	global_load_dwordx4 v[108:111], v[0:1], off
	global_load_dwordx4 v[116:119], v[4:5], off
	v_lshlrev_b64 v[0:1], 4, v[41:42]
	v_addc_co_u32_e64 v155, s[0:1], v19, v37, s[0:1]
	v_add_co_u32_e64 v0, s[0:1], v18, v0
	v_addc_co_u32_e64 v1, s[0:1], v19, v1, s[0:1]
	global_load_dwordx4 v[112:115], v[2:3], off
	global_load_dwordx4 v[104:107], v[6:7], off
	;; [unrolled: 1-line block ×13, first 2 shown]
                                        ; kill: killed $vgpr26 killed $vgpr27
                                        ; kill: killed $vgpr20 killed $vgpr21
                                        ; kill: killed $vgpr12 killed $vgpr13
                                        ; kill: killed $vgpr28 killed $vgpr29
                                        ; kill: killed $vgpr6 killed $vgpr7
                                        ; kill: killed $vgpr22 killed $vgpr23
                                        ; kill: killed $vgpr14 killed $vgpr15
                                        ; kill: killed $vgpr30 killed $vgpr31
                                        ; kill: killed $vgpr8 killed $vgpr9
                                        ; kill: killed $vgpr24 killed $vgpr25
                                        ; kill: killed $vgpr16 killed $vgpr17
                                        ; kill: killed $vgpr10 killed $vgpr11
                                        ; kill: killed $vgpr2 killed $vgpr3
	global_load_dwordx4 v[56:59], v[32:33], off
	global_load_dwordx4 v[52:55], v[34:35], off
	;; [unrolled: 1-line block ×6, first 2 shown]
                                        ; kill: killed $vgpr134 killed $vgpr135
                                        ; kill: killed $vgpr32 killed $vgpr33
                                        ; kill: killed $vgpr136 killed $vgpr137
                                        ; kill: killed $vgpr34 killed $vgpr35
                                        ; kill: killed $vgpr138 killed $vgpr139
                                        ; kill: killed $vgpr132 killed $vgpr133
	s_nop 0
	global_load_dwordx4 v[32:35], v[140:141], off
	global_load_dwordx4 v[28:31], v[142:143], off
	;; [unrolled: 1-line block ×3, first 2 shown]
                                        ; kill: killed $vgpr140 killed $vgpr141
                                        ; kill: killed $vgpr142 killed $vgpr143
                                        ; kill: killed $vgpr144 killed $vgpr145
	global_load_dwordx4 v[20:23], v[146:147], off
	global_load_dwordx4 v[16:19], v[148:149], off
                                        ; kill: killed $vgpr146 killed $vgpr147
                                        ; kill: killed $vgpr148 killed $vgpr149
	global_load_dwordx4 v[4:7], v[150:151], off
	global_load_dwordx4 v[12:15], v[152:153], off
	global_load_dwordx4 v[8:11], v[154:155], off
	s_nop 0
	global_load_dwordx4 v[0:3], v[0:1], off
.LBB0_13:
	s_or_b64 exec, exec, s[4:5]
	s_waitcnt vmcnt(27)
	v_add_f64 v[132:133], v[112:113], v[116:117]
	v_add_f64 v[134:135], v[116:117], v[108:109]
	v_add_f64 v[136:137], v[118:119], -v[114:115]
	v_add_f64 v[138:139], v[114:115], v[118:119]
	v_add_f64 v[118:119], v[118:119], v[110:111]
	s_mov_b32 s4, 0xe8584caa
	s_mov_b32 s5, 0xbfebb67a
	;; [unrolled: 1-line block ×3, first 2 shown]
	v_fma_f64 v[108:109], v[132:133], -0.5, v[108:109]
	s_mov_b32 s6, s4
	v_add_f64 v[116:117], v[116:117], -v[112:113]
	s_waitcnt vmcnt(25)
	v_add_f64 v[132:133], v[100:101], v[104:105]
	s_waitcnt vmcnt(24)
	v_add_f64 v[140:141], v[96:97], v[100:101]
	v_fma_f64 v[110:111], v[138:139], -0.5, v[110:111]
	v_add_f64 v[112:113], v[112:113], v[134:135]
	v_mad_u32_u24 v170, v122, 24, 0
	v_fma_f64 v[134:135], v[136:137], s[4:5], v[108:109]
	v_fma_f64 v[108:109], v[136:137], s[6:7], v[108:109]
	v_add_f64 v[136:137], v[114:115], v[118:119]
	v_add_f64 v[114:115], v[98:99], v[102:103]
	v_fma_f64 v[104:105], v[140:141], -0.5, v[104:105]
	v_add_f64 v[118:119], v[102:103], -v[98:99]
	v_fma_f64 v[138:139], v[116:117], s[6:7], v[110:111]
	v_fma_f64 v[140:141], v[116:117], s[4:5], v[110:111]
	v_add_f64 v[102:103], v[102:103], v[106:107]
	v_add_f64 v[110:111], v[96:97], v[132:133]
	s_waitcnt vmcnt(21)
	v_add_f64 v[116:117], v[84:85], v[88:89]
	v_fma_f64 v[106:107], v[114:115], -0.5, v[106:107]
	v_add_f64 v[96:97], v[100:101], -v[96:97]
	v_add_f64 v[114:115], v[88:89], v[92:93]
	v_fma_f64 v[100:101], v[118:119], s[4:5], v[104:105]
	v_fma_f64 v[104:105], v[118:119], s[6:7], v[104:105]
	v_add_f64 v[98:99], v[98:99], v[102:103]
	v_add_f64 v[102:103], v[86:87], v[90:91]
	v_fma_f64 v[92:93], v[116:117], -0.5, v[92:93]
	v_add_f64 v[116:117], v[90:91], -v[86:87]
	v_fma_f64 v[142:143], v[96:97], s[6:7], v[106:107]
	v_fma_f64 v[96:97], v[96:97], s[4:5], v[106:107]
	v_add_f64 v[90:91], v[90:91], v[94:95]
	v_add_f64 v[106:107], v[84:85], v[114:115]
	s_waitcnt vmcnt(18)
	v_add_f64 v[114:115], v[72:73], v[76:77]
	v_fma_f64 v[94:95], v[102:103], -0.5, v[94:95]
	v_add_f64 v[84:85], v[88:89], -v[84:85]
	v_add_f64 v[102:103], v[76:77], v[80:81]
	v_fma_f64 v[88:89], v[116:117], s[4:5], v[92:93]
	v_fma_f64 v[92:93], v[116:117], s[6:7], v[92:93]
	v_add_f64 v[86:87], v[86:87], v[90:91]
	v_add_f64 v[90:91], v[74:75], v[78:79]
	v_fma_f64 v[80:81], v[114:115], -0.5, v[80:81]
	v_add_f64 v[114:115], v[78:79], -v[74:75]
	v_add_f64 v[78:79], v[78:79], v[82:83]
	v_fma_f64 v[144:145], v[84:85], s[6:7], v[94:95]
	v_fma_f64 v[84:85], v[84:85], s[4:5], v[94:95]
	v_add_f64 v[94:95], v[72:73], v[102:103]
	s_waitcnt vmcnt(15)
	v_add_f64 v[102:103], v[60:61], v[64:65]
	v_fma_f64 v[82:83], v[90:91], -0.5, v[82:83]
	v_add_f64 v[72:73], v[76:77], -v[72:73]
	v_add_f64 v[90:91], v[64:65], v[68:69]
	v_add_f64 v[74:75], v[74:75], v[78:79]
	;; [unrolled: 1-line block ×3, first 2 shown]
	v_fma_f64 v[76:77], v[114:115], s[4:5], v[80:81]
	v_fma_f64 v[80:81], v[114:115], s[6:7], v[80:81]
	v_fma_f64 v[68:69], v[102:103], -0.5, v[68:69]
	v_add_f64 v[102:103], v[66:67], -v[62:63]
	v_fma_f64 v[146:147], v[72:73], s[6:7], v[82:83]
	v_fma_f64 v[72:73], v[72:73], s[4:5], v[82:83]
	v_add_f64 v[66:67], v[66:67], v[70:71]
	v_add_f64 v[82:83], v[60:61], v[90:91]
	s_waitcnt vmcnt(12)
	v_add_f64 v[90:91], v[48:49], v[52:53]
	v_fma_f64 v[70:71], v[78:79], -0.5, v[70:71]
	v_add_f64 v[60:61], v[64:65], -v[60:61]
	v_add_f64 v[78:79], v[52:53], v[56:57]
	v_fma_f64 v[64:65], v[102:103], s[4:5], v[68:69]
	v_fma_f64 v[68:69], v[102:103], s[6:7], v[68:69]
	v_add_f64 v[62:63], v[62:63], v[66:67]
	v_add_f64 v[66:67], v[50:51], v[54:55]
	v_fma_f64 v[56:57], v[90:91], -0.5, v[56:57]
	v_add_f64 v[90:91], v[54:55], -v[50:51]
	v_fma_f64 v[148:149], v[60:61], s[6:7], v[70:71]
	v_fma_f64 v[60:61], v[60:61], s[4:5], v[70:71]
	v_add_f64 v[54:55], v[54:55], v[58:59]
	v_add_f64 v[70:71], v[48:49], v[78:79]
	s_waitcnt vmcnt(9)
	v_add_f64 v[78:79], v[36:37], v[40:41]
	v_fma_f64 v[58:59], v[66:67], -0.5, v[58:59]
	v_add_f64 v[48:49], v[52:53], -v[48:49]
	v_add_f64 v[66:67], v[40:41], v[44:45]
	v_fma_f64 v[52:53], v[90:91], s[4:5], v[56:57]
	v_fma_f64 v[56:57], v[90:91], s[6:7], v[56:57]
	v_add_f64 v[50:51], v[50:51], v[54:55]
	v_add_f64 v[54:55], v[38:39], v[42:43]
	v_fma_f64 v[44:45], v[78:79], -0.5, v[44:45]
	v_add_f64 v[78:79], v[42:43], -v[38:39]
	v_add_f64 v[42:43], v[42:43], v[46:47]
	v_fma_f64 v[90:91], v[48:49], s[6:7], v[58:59]
	v_fma_f64 v[58:59], v[48:49], s[4:5], v[58:59]
	v_add_f64 v[48:49], v[36:37], v[66:67]
	v_add_f64 v[36:37], v[40:41], -v[36:37]
	v_fma_f64 v[46:47], v[54:55], -0.5, v[46:47]
	s_waitcnt vmcnt(6)
	v_add_f64 v[54:55], v[30:31], -v[26:27]
	v_fma_f64 v[40:41], v[78:79], s[4:5], v[44:45]
	v_fma_f64 v[44:45], v[78:79], s[6:7], v[44:45]
	v_add_f64 v[78:79], v[38:39], v[42:43]
	v_add_f64 v[38:39], v[26:27], v[30:31]
	;; [unrolled: 1-line block ×5, first 2 shown]
	s_waitcnt vmcnt(3)
	v_add_f64 v[102:103], v[4:5], v[16:17]
	v_add_f64 v[28:29], v[28:29], -v[24:25]
	v_fma_f64 v[150:151], v[36:37], s[4:5], v[46:47]
	v_mad_i32_i24 v171, v130, 24, 0
	v_fma_f64 v[34:35], v[38:39], -0.5, v[34:35]
	v_add_f64 v[38:39], v[16:17], v[20:21]
	v_add_f64 v[152:153], v[26:27], v[30:31]
	v_add_f64 v[26:27], v[6:7], v[18:19]
	s_waitcnt vmcnt(0)
	v_add_f64 v[30:31], v[0:1], v[8:9]
	v_fma_f64 v[32:33], v[66:67], -0.5, v[32:33]
	v_add_f64 v[24:25], v[24:25], v[42:43]
	v_fma_f64 v[20:21], v[102:103], -0.5, v[20:21]
	v_add_f64 v[42:43], v[18:19], -v[6:7]
	v_fma_f64 v[154:155], v[28:29], s[6:7], v[34:35]
	v_fma_f64 v[156:157], v[28:29], s[4:5], v[34:35]
	v_add_f64 v[28:29], v[4:5], v[38:39]
	v_add_f64 v[38:39], v[2:3], v[10:11]
	;; [unrolled: 1-line block ×3, first 2 shown]
	v_fma_f64 v[22:23], v[26:27], -0.5, v[22:23]
	v_add_f64 v[4:5], v[16:17], -v[4:5]
	v_add_f64 v[16:17], v[8:9], v[12:13]
	v_fma_f64 v[12:13], v[30:31], -0.5, v[12:13]
	v_add_f64 v[26:27], v[10:11], -v[2:3]
	v_fma_f64 v[66:67], v[36:37], s[6:7], v[46:47]
	v_fma_f64 v[36:37], v[54:55], s[4:5], v[32:33]
	;; [unrolled: 1-line block ×3, first 2 shown]
	v_add_f64 v[10:11], v[10:11], v[14:15]
	v_fma_f64 v[14:15], v[38:39], -0.5, v[14:15]
	v_add_f64 v[8:9], v[8:9], -v[0:1]
	v_fma_f64 v[160:161], v[4:5], s[6:7], v[22:23]
	v_fma_f64 v[162:163], v[4:5], s[4:5], v[22:23]
	v_add_f64 v[0:1], v[0:1], v[16:17]
	v_fma_f64 v[4:5], v[26:27], s[4:5], v[12:13]
	v_fma_f64 v[32:33], v[54:55], s[6:7], v[32:33]
	v_fma_f64 v[20:21], v[42:43], s[6:7], v[20:21]
	v_add_f64 v[158:159], v[6:7], v[18:19]
	v_fma_f64 v[6:7], v[26:27], s[6:7], v[12:13]
	ds_write2_b64 v170, v[112:113], v[134:135] offset1:1
	ds_write_b64 v170, v[108:109] offset:16
	ds_write2_b64 v171, v[110:111], v[100:101] offset1:1
	ds_write_b64 v171, v[104:105] offset:16
	v_mad_i32_i24 v172, v131, 24, 0
	v_mad_i32_i24 v101, v123, 24, 0
	ds_write2_b64 v172, v[106:107], v[88:89] offset1:1
	ds_write_b64 v172, v[92:93] offset:16
	ds_write2_b64 v101, v[94:95], v[76:77] offset1:1
	ds_write_b64 v101, v[80:81] offset:16
	v_mad_i32_i24 v76, v124, 24, 0
	ds_write2_b64 v76, v[82:83], v[64:65] offset1:1
	ds_write_b64 v76, v[68:69] offset:16
	v_mad_i32_i24 v64, v125, 24, 0
	v_mad_i32_i24 v108, v126, 24, 0
	v_lshl_add_u32 v100, v122, 3, 0
	v_lshlrev_b32_e32 v114, 4, v123
	v_lshlrev_b32_e32 v115, 4, v126
	ds_write2_b64 v64, v[70:71], v[52:53] offset1:1
	ds_write_b64 v64, v[56:57] offset:16
	v_mad_i32_i24 v56, v127, 24, 0
	v_mad_i32_i24 v57, v128, 24, 0
	;; [unrolled: 1-line block ×3, first 2 shown]
	v_sub_u32_e32 v132, v101, v114
	v_sub_u32_e32 v119, v108, v115
	v_lshlrev_b32_e32 v116, 4, v129
	v_add_u32_e32 v105, 0x2000, v100
	v_add_u32_e32 v109, 0x2400, v100
	;; [unrolled: 1-line block ×12, first 2 shown]
	s_movk_i32 s0, 0xab
	v_add_f64 v[164:165], v[2:3], v[10:11]
	v_fma_f64 v[166:167], v[8:9], s[6:7], v[14:15]
	v_fma_f64 v[168:169], v[8:9], s[4:5], v[14:15]
	ds_write2_b64 v108, v[48:49], v[40:41] offset1:1
	ds_write_b64 v108, v[44:45] offset:16
	ds_write2_b64 v56, v[24:25], v[36:37] offset1:1
	ds_write_b64 v56, v[32:33] offset:16
	;; [unrolled: 2-line block ×4, first 2 shown]
	s_waitcnt lgkmcnt(0)
	s_barrier
	v_sub_u32_e32 v133, v113, v116
	ds_read_b64 v[211:212], v119
	ds_read_b64 v[215:216], v133
	ds_read2_b64 v[44:47], v105 offset0:56 offset1:146
	ds_read2_b64 v[16:19], v109 offset0:108 offset1:198
	;; [unrolled: 1-line block ×6, first 2 shown]
	v_lshl_add_u32 v104, v130, 3, 0
	ds_read_b64 v[54:55], v100
	ds_read_b64 v[52:53], v104
	ds_read2_b64 v[32:35], v134 offset0:104 offset1:194
	ds_read2_b64 v[28:31], v135 offset0:118 offset1:208
	;; [unrolled: 1-line block ×6, first 2 shown]
	v_lshl_add_u32 v107, v131, 3, 0
	ds_read_b64 v[195:196], v132
	ds_read_b64 v[48:49], v107
	s_waitcnt lgkmcnt(0)
	s_barrier
	ds_write2_b64 v170, v[136:137], v[138:139] offset1:1
	ds_write_b64 v170, v[140:141] offset:16
	ds_write2_b64 v171, v[98:99], v[142:143] offset1:1
	ds_write_b64 v171, v[96:97] offset:16
	;; [unrolled: 2-line block ×10, first 2 shown]
	v_mul_lo_u16_sdwa v50, v122, s0 dst_sel:DWORD dst_unused:UNUSED_PAD src0_sel:BYTE_0 src1_sel:DWORD
	v_lshrrev_b16_e32 v137, 9, v50
	v_mul_lo_u16_e32 v50, 3, v137
	v_sub_u16_e32 v138, v122, v50
	v_mov_b32_e32 v136, 9
	v_mul_u32_u24_sdwa v50, v138, v136 dst_sel:DWORD dst_unused:UNUSED_PAD src0_sel:BYTE_0 src1_sel:DWORD
	v_lshlrev_b32_e32 v50, 4, v50
	s_waitcnt lgkmcnt(0)
	s_barrier
	global_load_dwordx4 v[56:59], v50, s[8:9]
	global_load_dwordx4 v[60:63], v50, s[8:9] offset:16
	global_load_dwordx4 v[64:67], v50, s[8:9] offset:32
	;; [unrolled: 1-line block ×8, first 2 shown]
	v_mul_lo_u16_sdwa v51, v130, s0 dst_sel:DWORD dst_unused:UNUSED_PAD src0_sel:BYTE_0 src1_sel:DWORD
	v_lshrrev_b16_e32 v139, 9, v51
	v_mul_lo_u16_e32 v50, 3, v139
	v_sub_u16_e32 v140, v130, v50
	v_mul_u32_u24_sdwa v50, v140, v136 dst_sel:DWORD dst_unused:UNUSED_PAD src0_sel:BYTE_0 src1_sel:DWORD
	v_lshlrev_b32_e32 v199, 4, v50
	global_load_dwordx4 v[92:95], v199, s[8:9]
	global_load_dwordx4 v[96:99], v199, s[8:9] offset:16
	global_load_dwordx4 v[143:146], v199, s[8:9] offset:48
	;; [unrolled: 1-line block ×3, first 2 shown]
	ds_read_b64 v[213:214], v132
	ds_read_b64 v[217:218], v119
	;; [unrolled: 1-line block ×3, first 2 shown]
	ds_read2_b64 v[151:154], v105 offset0:56 offset1:146
	ds_read2_b64 v[155:158], v109 offset0:108 offset1:198
	;; [unrolled: 1-line block ×3, first 2 shown]
	global_load_dwordx4 v[163:166], v199, s[8:9] offset:64
	ds_read_b64 v[50:51], v107
	global_load_dwordx4 v[167:170], v199, s[8:9] offset:96
	global_load_dwordx4 v[171:174], v199, s[8:9] offset:80
	ds_read2_b64 v[175:178], v102 offset0:8 offset1:98
	ds_read2_b64 v[179:182], v110 offset0:112 offset1:202
	;; [unrolled: 1-line block ×5, first 2 shown]
	s_mov_b32 s0, 0xaaab
	s_mov_b32 s11, 0x3fee6f0e
	;; [unrolled: 1-line block ×14, first 2 shown]
	s_movk_i32 s26, 0x89
	s_mov_b32 s27, 0x8889
	s_waitcnt vmcnt(15) lgkmcnt(11)
	v_mul_f64 v[141:142], v[213:214], v[58:59]
	v_mul_f64 v[58:59], v[195:196], v[58:59]
	s_waitcnt vmcnt(14) lgkmcnt(10)
	v_mul_f64 v[221:222], v[217:218], v[62:63]
	v_mul_f64 v[62:63], v[211:212], v[62:63]
	s_waitcnt vmcnt(12) lgkmcnt(8)
	v_mul_f64 v[223:224], v[151:152], v[70:71]
	s_waitcnt vmcnt(11) lgkmcnt(7)
	v_mul_f64 v[225:226], v[157:158], v[74:75]
	v_mul_f64 v[70:71], v[44:45], v[70:71]
	v_fma_f64 v[227:228], v[195:196], v[56:57], v[141:142]
	global_load_dwordx4 v[195:198], v199, s[8:9] offset:112
	s_nop 0
	global_load_dwordx4 v[199:202], v199, s[8:9] offset:128
	v_mul_u32_u24_sdwa v141, v131, s0 dst_sel:DWORD dst_unused:UNUSED_PAD src0_sel:WORD_0 src1_sel:DWORD
	v_lshrrev_b32_e32 v141, 17, v141
	v_mul_lo_u16_e32 v142, 3, v141
	v_sub_u16_e32 v142, v131, v142
	v_mul_u32_u24_e32 v203, 9, v142
	v_lshlrev_b32_e32 v245, 4, v203
	global_load_dwordx4 v[203:206], v245, s[8:9] offset:16
	global_load_dwordx4 v[207:210], v245, s[8:9]
	v_fma_f64 v[229:230], v[213:214], v[56:57], -v[58:59]
	v_fma_f64 v[231:232], v[211:212], v[60:61], v[221:222]
	v_mul_f64 v[221:222], v[219:220], v[66:67]
	global_load_dwordx4 v[56:59], v245, s[8:9] offset:48
	global_load_dwordx4 v[211:214], v245, s[8:9] offset:32
	v_mul_f64 v[66:67], v[215:216], v[66:67]
	v_fma_f64 v[233:234], v[217:218], v[60:61], -v[62:63]
	v_fma_f64 v[237:238], v[44:45], v[68:69], v[223:224]
	v_fma_f64 v[239:240], v[18:19], v[72:73], v[225:226]
	v_mul_f64 v[18:19], v[18:19], v[74:75]
	s_waitcnt vmcnt(14) lgkmcnt(3)
	v_mul_f64 v[74:75], v[179:180], v[86:87]
	v_fma_f64 v[235:236], v[215:216], v[64:65], v[221:222]
	global_load_dwordx4 v[60:63], v245, s[8:9] offset:80
	global_load_dwordx4 v[215:218], v245, s[8:9] offset:64
	v_fma_f64 v[64:65], v[219:220], v[64:65], -v[66:67]
	global_load_dwordx4 v[219:222], v245, s[8:9] offset:112
	global_load_dwordx4 v[223:226], v245, s[8:9] offset:96
	v_fma_f64 v[151:152], v[151:152], v[68:69], -v[70:71]
	v_mul_f64 v[68:69], v[177:178], v[82:83]
	v_fma_f64 v[157:158], v[157:158], v[72:73], -v[18:19]
	v_mul_f64 v[18:19], v[36:37], v[86:87]
	v_fma_f64 v[36:37], v[36:37], v[84:85], v[74:75]
	global_load_dwordx4 v[72:75], v245, s[8:9] offset:128
	v_mul_f64 v[44:45], v[159:160], v[78:79]
	v_mul_f64 v[70:71], v[6:7], v[82:83]
	;; [unrolled: 1-line block ×3, first 2 shown]
	v_fma_f64 v[243:244], v[6:7], v[80:81], v[68:69]
	s_waitcnt vmcnt(18) lgkmcnt(2)
	v_mul_f64 v[6:7], v[185:186], v[90:91]
	v_fma_f64 v[179:180], v[179:180], v[84:85], -v[18:19]
	s_waitcnt vmcnt(17) lgkmcnt(1)
	v_mul_f64 v[18:19], v[187:188], v[94:95]
	s_mov_b32 s0, 0x134454ff
	v_fma_f64 v[241:242], v[40:41], v[76:77], v[44:45]
	v_mul_f64 v[40:41], v[2:3], v[90:91]
	v_mul_f64 v[44:45], v[32:33], v[94:95]
	v_fma_f64 v[159:160], v[159:160], v[76:77], -v[66:67]
	v_fma_f64 v[245:246], v[2:3], v[88:89], v[6:7]
	s_waitcnt vmcnt(16) lgkmcnt(0)
	v_mul_f64 v[2:3], v[191:192], v[98:99]
	v_mul_f64 v[6:7], v[28:29], v[98:99]
	ds_read2_b64 v[76:79], v103 offset0:132 offset1:222
	s_waitcnt vmcnt(15)
	v_mul_f64 v[66:67], v[153:154], v[145:146]
	v_fma_f64 v[177:178], v[177:178], v[80:81], -v[70:71]
	v_fma_f64 v[185:186], v[185:186], v[88:89], -v[40:41]
	v_fma_f64 v[80:81], v[32:33], v[92:93], v[18:19]
	v_fma_f64 v[40:41], v[187:188], v[92:93], -v[44:45]
	v_mul_f64 v[18:19], v[46:47], v[145:146]
	v_fma_f64 v[145:146], v[28:29], v[96:97], v[2:3]
	v_fma_f64 v[187:188], v[191:192], v[96:97], -v[6:7]
	s_waitcnt vmcnt(14) lgkmcnt(0)
	v_mul_f64 v[2:3], v[76:77], v[149:150]
	v_mul_f64 v[6:7], v[24:25], v[149:150]
	ds_read2_b64 v[88:91], v112 offset0:160 offset1:250
	v_fma_f64 v[191:192], v[46:47], v[143:144], v[66:67]
	ds_read2_b64 v[44:47], v106 offset0:60 offset1:150
	v_fma_f64 v[143:144], v[153:154], v[143:144], -v[18:19]
	ds_read2_b64 v[96:99], v118 offset0:88 offset1:178
	s_waitcnt vmcnt(13) lgkmcnt(2)
	v_mul_f64 v[18:19], v[88:89], v[165:166]
	v_fma_f64 v[82:83], v[24:25], v[147:148], v[2:3]
	v_fma_f64 v[76:77], v[76:77], v[147:148], -v[6:7]
	s_waitcnt vmcnt(11)
	v_mul_f64 v[6:7], v[42:43], v[173:174]
	s_waitcnt lgkmcnt(1)
	v_mul_f64 v[24:25], v[44:45], v[169:170]
	v_mul_f64 v[28:29], v[20:21], v[165:166]
	;; [unrolled: 1-line block ×3, first 2 shown]
	s_mov_b32 s1, 0xbfee6f0e
	v_fma_f64 v[86:87], v[20:21], v[163:164], v[18:19]
	v_mul_f64 v[18:19], v[12:13], v[169:170]
	s_mov_b32 s10, s0
	v_fma_f64 v[149:150], v[161:162], v[171:172], -v[6:7]
	v_fma_f64 v[84:85], v[12:13], v[167:168], v[24:25]
	v_fma_f64 v[66:67], v[88:89], v[163:164], -v[28:29]
	v_fma_f64 v[147:148], v[42:43], v[171:172], v[2:3]
	ds_read_b64 v[42:43], v100
	ds_read_b64 v[153:154], v104
	v_add_f64 v[171:172], v[64:65], -v[157:158]
	v_fma_f64 v[68:69], v[44:45], v[167:168], -v[18:19]
	v_add_f64 v[44:45], v[54:55], v[231:232]
	v_add_f64 v[173:174], v[185:186], -v[177:178]
	s_waitcnt vmcnt(10)
	v_mul_f64 v[6:7], v[38:39], v[197:198]
	s_waitcnt vmcnt(9) lgkmcnt(2)
	v_mul_f64 v[12:13], v[96:97], v[201:202]
	v_mul_f64 v[2:3], v[181:182], v[197:198]
	;; [unrolled: 1-line block ×3, first 2 shown]
	s_waitcnt vmcnt(0) lgkmcnt(0)
	s_barrier
	v_add_f64 v[44:45], v[44:45], v[237:238]
	v_mul_f64 v[20:21], v[189:190], v[209:210]
	v_fma_f64 v[163:164], v[181:182], v[195:196], -v[6:7]
	v_mul_f64 v[6:7], v[193:194], v[205:206]
	v_fma_f64 v[94:95], v[8:9], v[199:200], v[12:13]
	v_mul_f64 v[8:9], v[30:31], v[205:206]
	v_mul_f64 v[12:13], v[78:79], v[213:214]
	v_fma_f64 v[161:162], v[38:39], v[195:196], v[2:3]
	v_mul_f64 v[2:3], v[34:35], v[209:210]
	v_fma_f64 v[70:71], v[96:97], v[199:200], -v[18:19]
	v_fma_f64 v[18:19], v[34:35], v[207:208], v[20:21]
	v_mul_f64 v[24:25], v[26:27], v[213:214]
	v_fma_f64 v[28:29], v[30:31], v[203:204], v[6:7]
	v_mul_f64 v[30:31], v[155:156], v[58:59]
	v_mul_f64 v[32:33], v[16:17], v[58:59]
	v_fma_f64 v[20:21], v[193:194], v[203:204], -v[8:9]
	v_mul_f64 v[34:35], v[90:91], v[217:218]
	v_fma_f64 v[8:9], v[26:27], v[211:212], v[12:13]
	v_mul_f64 v[26:27], v[175:176], v[62:63]
	v_mul_f64 v[38:39], v[4:5], v[62:63]
	v_fma_f64 v[6:7], v[78:79], v[211:212], -v[24:25]
	v_mul_f64 v[12:13], v[22:23], v[217:218]
	v_fma_f64 v[30:31], v[16:17], v[56:57], v[30:31]
	v_fma_f64 v[24:25], v[155:156], v[56:57], -v[32:33]
	v_fma_f64 v[16:17], v[22:23], v[215:216], v[34:35]
	v_mul_f64 v[34:35], v[46:47], v[225:226]
	v_fma_f64 v[32:33], v[4:5], v[60:61], v[26:27]
	v_mul_f64 v[4:5], v[14:15], v[225:226]
	v_add_f64 v[26:27], v[237:238], v[241:242]
	v_fma_f64 v[22:23], v[175:176], v[60:61], -v[38:39]
	v_mul_f64 v[38:39], v[183:184], v[221:222]
	v_mul_f64 v[56:57], v[0:1], v[221:222]
	;; [unrolled: 1-line block ×3, first 2 shown]
	v_fma_f64 v[14:15], v[14:15], v[223:224], v[34:35]
	v_add_f64 v[60:61], v[233:234], -v[179:180]
	v_fma_f64 v[4:5], v[46:47], v[223:224], -v[4:5]
	v_fma_f64 v[46:47], v[26:27], -0.5, v[54:55]
	v_add_f64 v[78:79], v[241:242], -v[36:37]
	v_fma_f64 v[34:35], v[0:1], v[219:220], v[38:39]
	v_mul_f64 v[0:1], v[10:11], v[74:75]
	v_add_f64 v[38:39], v[44:45], v[241:242]
	v_fma_f64 v[26:27], v[183:184], v[219:220], -v[56:57]
	v_fma_f64 v[10:11], v[10:11], v[72:73], v[58:59]
	v_add_f64 v[56:57], v[151:152], -v[159:160]
	v_fma_f64 v[44:45], v[60:61], s[0:1], v[46:47]
	v_add_f64 v[58:59], v[231:232], v[36:37]
	v_fma_f64 v[46:47], v[60:61], s[10:11], v[46:47]
	v_fma_f64 v[0:1], v[98:99], v[72:73], -v[0:1]
	v_add_f64 v[62:63], v[38:39], v[36:37]
	v_add_f64 v[38:39], v[231:232], -v[237:238]
	v_add_f64 v[72:73], v[36:37], -v[241:242]
	;; [unrolled: 1-line block ×3, first 2 shown]
	v_fma_f64 v[44:45], v[56:57], s[18:19], v[44:45]
	v_fma_f64 v[54:55], v[58:59], -0.5, v[54:55]
	v_add_f64 v[58:59], v[151:152], v[159:160]
	v_fma_f64 v[46:47], v[56:57], s[14:15], v[46:47]
	v_add_f64 v[36:37], v[231:232], -v[36:37]
	v_fma_f64 v[12:13], v[90:91], v[215:216], -v[12:13]
	v_add_f64 v[38:39], v[38:39], v[72:73]
	v_add_f64 v[181:182], v[177:178], -v[185:186]
	v_add_f64 v[183:184], v[243:244], -v[245:246]
	v_fma_f64 v[72:73], v[56:57], s[10:11], v[54:55]
	v_fma_f64 v[54:55], v[56:57], s[0:1], v[54:55]
	v_add_f64 v[56:57], v[42:43], v[233:234]
	v_fma_f64 v[58:59], v[58:59], -0.5, v[42:43]
	v_fma_f64 v[2:3], v[189:190], v[207:208], -v[2:3]
	v_fma_f64 v[98:99], v[38:39], s[16:17], v[46:47]
	v_add_f64 v[46:47], v[233:234], v[179:180]
	v_fma_f64 v[90:91], v[38:39], s[16:17], v[44:45]
	v_fma_f64 v[38:39], v[60:61], s[18:19], v[72:73]
	v_add_f64 v[44:45], v[74:75], v[78:79]
	v_fma_f64 v[54:55], v[60:61], s[14:15], v[54:55]
	v_add_f64 v[56:57], v[56:57], v[151:152]
	v_fma_f64 v[60:61], v[36:37], s[10:11], v[58:59]
	v_add_f64 v[72:73], v[237:238], -v[241:242]
	v_add_f64 v[74:75], v[233:234], -v[151:152]
	;; [unrolled: 1-line block ×3, first 2 shown]
	v_fma_f64 v[58:59], v[36:37], s[0:1], v[58:59]
	v_fma_f64 v[42:43], v[46:47], -0.5, v[42:43]
	v_fma_f64 v[92:93], v[44:45], s[16:17], v[38:39]
	v_fma_f64 v[96:97], v[44:45], s[16:17], v[54:55]
	v_add_f64 v[38:39], v[56:57], v[159:160]
	v_fma_f64 v[44:45], v[72:73], s[14:15], v[60:61]
	v_add_f64 v[46:47], v[239:240], v[243:244]
	v_add_f64 v[54:55], v[74:75], v[78:79]
	v_fma_f64 v[56:57], v[72:73], s[18:19], v[58:59]
	v_fma_f64 v[58:59], v[72:73], s[0:1], v[42:43]
	v_add_f64 v[60:61], v[151:152], -v[233:234]
	v_add_f64 v[74:75], v[159:160], -v[179:180]
	v_fma_f64 v[42:43], v[72:73], s[10:11], v[42:43]
	v_add_f64 v[72:73], v[227:228], v[235:236]
	v_fma_f64 v[46:47], v[46:47], -0.5, v[227:228]
	v_add_f64 v[78:79], v[64:65], -v[185:186]
	v_add_f64 v[151:152], v[38:39], v[179:180]
	v_fma_f64 v[155:156], v[54:55], s[16:17], v[44:45]
	v_fma_f64 v[38:39], v[36:37], s[14:15], v[58:59]
	v_add_f64 v[44:45], v[60:61], v[74:75]
	v_fma_f64 v[36:37], v[36:37], s[18:19], v[42:43]
	v_add_f64 v[42:43], v[72:73], v[239:240]
	v_fma_f64 v[159:160], v[54:55], s[16:17], v[56:57]
	v_fma_f64 v[54:55], v[78:79], s[0:1], v[46:47]
	v_add_f64 v[56:57], v[157:158], -v[177:178]
	v_add_f64 v[58:59], v[235:236], -v[239:240]
	;; [unrolled: 1-line block ×3, first 2 shown]
	v_fma_f64 v[165:166], v[44:45], s[16:17], v[38:39]
	v_add_f64 v[72:73], v[157:158], v[177:178]
	v_fma_f64 v[167:168], v[44:45], s[16:17], v[36:37]
	v_add_f64 v[36:37], v[42:43], v[243:244]
	v_add_f64 v[44:45], v[64:65], v[185:186]
	;; [unrolled: 1-line block ×3, first 2 shown]
	v_fma_f64 v[42:43], v[56:57], s[18:19], v[54:55]
	v_add_f64 v[54:55], v[58:59], v[60:61]
	v_add_f64 v[60:61], v[235:236], -v[245:246]
	v_fma_f64 v[58:59], v[72:73], -0.5, v[229:230]
	v_fma_f64 v[46:47], v[78:79], s[10:11], v[46:47]
	v_add_f64 v[88:89], v[36:37], v[245:246]
	v_add_f64 v[36:37], v[239:240], -v[243:244]
	v_fma_f64 v[44:45], v[44:45], -0.5, v[229:230]
	v_fma_f64 v[38:39], v[38:39], -0.5, v[227:228]
	v_add_f64 v[179:180], v[157:158], -v[64:65]
	v_add_f64 v[74:75], v[239:240], -v[235:236]
	v_fma_f64 v[169:170], v[60:61], s[10:11], v[58:59]
	v_fma_f64 v[46:47], v[56:57], s[14:15], v[46:47]
	;; [unrolled: 1-line block ×3, first 2 shown]
	v_add_f64 v[64:65], v[229:230], v[64:65]
	v_fma_f64 v[175:176], v[36:37], s[0:1], v[44:45]
	v_fma_f64 v[44:45], v[36:37], s[10:11], v[44:45]
	;; [unrolled: 1-line block ×5, first 2 shown]
	v_add_f64 v[169:170], v[171:172], v[173:174]
	v_add_f64 v[173:174], v[179:180], v[181:182]
	v_fma_f64 v[36:37], v[36:37], s[18:19], v[58:59]
	v_fma_f64 v[171:172], v[60:61], s[14:15], v[175:176]
	;; [unrolled: 1-line block ×4, first 2 shown]
	v_add_f64 v[60:61], v[74:75], v[183:184]
	v_fma_f64 v[38:39], v[78:79], s[14:15], v[38:39]
	v_fma_f64 v[56:57], v[169:170], s[16:17], v[56:57]
	;; [unrolled: 1-line block ×3, first 2 shown]
	v_add_f64 v[64:65], v[64:65], v[157:158]
	v_fma_f64 v[74:75], v[173:174], s[16:17], v[171:172]
	v_fma_f64 v[44:45], v[173:174], s[16:17], v[44:45]
	v_fma_f64 v[46:47], v[54:55], s[16:17], v[46:47]
	v_fma_f64 v[54:55], v[60:61], s[16:17], v[72:73]
	v_fma_f64 v[58:59], v[60:61], s[16:17], v[38:39]
	v_mul_f64 v[38:39], v[56:57], s[18:19]
	v_fma_f64 v[72:73], v[169:170], s[16:17], v[36:37]
	v_add_f64 v[64:65], v[64:65], v[177:178]
	v_mul_f64 v[60:61], v[74:75], s[0:1]
	v_mul_f64 v[78:79], v[44:45], s[0:1]
	;; [unrolled: 1-line block ×4, first 2 shown]
	v_add_f64 v[179:180], v[52:53], v[145:146]
	v_fma_f64 v[157:158], v[42:43], s[22:23], v[38:39]
	v_mul_f64 v[38:39], v[72:73], s[18:19]
	v_add_f64 v[181:182], v[191:192], v[147:148]
	v_add_f64 v[64:65], v[64:65], v[185:186]
	v_fma_f64 v[78:79], v[58:59], s[20:21], v[78:79]
	v_fma_f64 v[60:61], v[54:55], s[16:17], v[60:61]
	v_mul_f64 v[169:170], v[44:45], s[20:21]
	v_mul_f64 v[171:172], v[72:73], s[24:25]
	v_fma_f64 v[175:176], v[42:43], s[14:15], v[56:57]
	v_fma_f64 v[173:174], v[46:47], s[24:25], v[38:39]
	v_add_f64 v[38:39], v[90:91], v[157:158]
	v_fma_f64 v[177:178], v[54:55], s[10:11], v[74:75]
	v_add_f64 v[72:73], v[96:97], v[78:79]
	v_add_f64 v[90:91], v[90:91], -v[157:158]
	v_add_f64 v[157:158], v[179:180], v[191:192]
	v_fma_f64 v[179:180], v[181:182], -0.5, v[52:53]
	v_add_f64 v[181:182], v[187:188], -v[163:164]
	v_add_f64 v[96:97], v[96:97], -v[78:79]
	v_add_f64 v[78:79], v[145:146], v[161:162]
	v_add_f64 v[36:37], v[62:63], v[88:89]
	;; [unrolled: 1-line block ×3, first 2 shown]
	v_fma_f64 v[169:170], v[58:59], s[10:11], v[169:170]
	v_fma_f64 v[171:172], v[46:47], s[14:15], v[171:172]
	v_add_f64 v[74:75], v[98:99], v[173:174]
	v_add_f64 v[42:43], v[151:152], v[64:65]
	;; [unrolled: 1-line block ×4, first 2 shown]
	v_add_f64 v[88:89], v[62:63], -v[88:89]
	v_add_f64 v[92:93], v[92:93], -v[60:61]
	;; [unrolled: 1-line block ×6, first 2 shown]
	v_add_f64 v[151:152], v[157:158], v[147:148]
	v_fma_f64 v[155:156], v[181:182], s[0:1], v[179:180]
	v_add_f64 v[157:158], v[143:144], -v[149:150]
	v_add_f64 v[165:166], v[145:146], -v[191:192]
	;; [unrolled: 1-line block ×3, first 2 shown]
	v_fma_f64 v[175:176], v[181:182], s[10:11], v[179:180]
	v_fma_f64 v[177:178], v[78:79], -0.5, v[52:53]
	v_add_f64 v[56:57], v[167:168], v[169:170]
	v_add_f64 v[58:59], v[159:160], v[171:172]
	v_add_f64 v[52:53], v[167:168], -v[169:170]
	v_add_f64 v[78:79], v[159:160], -v[171:172]
	v_fma_f64 v[155:156], v[157:158], s[18:19], v[155:156]
	v_add_f64 v[159:160], v[143:144], v[149:150]
	v_add_f64 v[165:166], v[165:166], v[173:174]
	v_fma_f64 v[167:168], v[157:158], s[14:15], v[175:176]
	v_fma_f64 v[169:170], v[157:158], s[10:11], v[177:178]
	v_add_f64 v[171:172], v[191:192], -v[145:146]
	v_add_f64 v[173:174], v[147:148], -v[161:162]
	v_fma_f64 v[157:158], v[157:158], s[0:1], v[177:178]
	v_add_f64 v[175:176], v[153:154], v[187:188]
	v_add_f64 v[151:152], v[151:152], v[161:162]
	v_fma_f64 v[159:160], v[159:160], -0.5, v[153:154]
	v_add_f64 v[145:146], v[145:146], -v[161:162]
	v_fma_f64 v[155:156], v[165:166], s[16:17], v[155:156]
	v_fma_f64 v[161:162], v[165:166], s[16:17], v[167:168]
	;; [unrolled: 1-line block ×3, first 2 shown]
	v_add_f64 v[167:168], v[171:172], v[173:174]
	v_add_f64 v[169:170], v[187:188], v[163:164]
	v_fma_f64 v[157:158], v[181:182], s[14:15], v[157:158]
	v_add_f64 v[171:172], v[175:176], v[143:144]
	v_fma_f64 v[173:174], v[145:146], s[10:11], v[159:160]
	v_add_f64 v[147:148], v[191:192], -v[147:148]
	v_add_f64 v[175:176], v[187:188], -v[143:144]
	v_add_f64 v[177:178], v[163:164], -v[149:150]
	v_fma_f64 v[159:160], v[145:146], s[0:1], v[159:160]
	v_fma_f64 v[153:154], v[169:170], -0.5, v[153:154]
	v_fma_f64 v[165:166], v[167:168], s[16:17], v[165:166]
	v_fma_f64 v[157:158], v[167:168], s[16:17], v[157:158]
	v_add_f64 v[167:168], v[171:172], v[149:150]
	v_add_f64 v[171:172], v[86:87], v[84:85]
	v_fma_f64 v[169:170], v[147:148], s[14:15], v[173:174]
	v_add_f64 v[173:174], v[175:176], v[177:178]
	v_fma_f64 v[159:160], v[147:148], s[18:19], v[159:160]
	v_fma_f64 v[175:176], v[147:148], s[0:1], v[153:154]
	v_add_f64 v[143:144], v[143:144], -v[187:188]
	v_add_f64 v[149:150], v[149:150], -v[163:164]
	v_fma_f64 v[147:148], v[147:148], s[10:11], v[153:154]
	v_add_f64 v[153:154], v[80:81], v[82:83]
	v_fma_f64 v[171:172], v[171:172], -0.5, v[80:81]
	v_add_f64 v[177:178], v[76:77], -v[70:71]
	v_add_f64 v[163:164], v[167:168], v[163:164]
	v_fma_f64 v[167:168], v[173:174], s[16:17], v[169:170]
	v_fma_f64 v[169:170], v[145:146], s[14:15], v[175:176]
	v_add_f64 v[143:144], v[143:144], v[149:150]
	v_fma_f64 v[149:150], v[173:174], s[16:17], v[159:160]
	v_fma_f64 v[145:146], v[145:146], s[18:19], v[147:148]
	v_add_f64 v[147:148], v[153:154], v[86:87]
	v_fma_f64 v[153:154], v[177:178], s[0:1], v[171:172]
	v_add_f64 v[159:160], v[66:67], -v[68:69]
	v_add_f64 v[173:174], v[82:83], -v[86:87]
	;; [unrolled: 1-line block ×3, first 2 shown]
	v_add_f64 v[179:180], v[82:83], v[94:95]
	v_add_f64 v[181:182], v[66:67], v[68:69]
	v_fma_f64 v[169:170], v[143:144], s[16:17], v[169:170]
	v_fma_f64 v[143:144], v[143:144], s[16:17], v[145:146]
	v_add_f64 v[145:146], v[147:148], v[84:85]
	v_fma_f64 v[147:148], v[159:160], s[18:19], v[153:154]
	v_add_f64 v[153:154], v[76:77], v[70:71]
	v_add_f64 v[173:174], v[173:174], v[175:176]
	v_fma_f64 v[80:81], v[179:180], -0.5, v[80:81]
	v_fma_f64 v[175:176], v[181:182], -0.5, v[40:41]
	v_add_f64 v[179:180], v[82:83], -v[94:95]
	v_add_f64 v[181:182], v[86:87], -v[84:85]
	;; [unrolled: 1-line block ×4, first 2 shown]
	v_fma_f64 v[153:154], v[153:154], -0.5, v[40:41]
	v_add_f64 v[187:188], v[70:71], -v[68:69]
	v_add_f64 v[145:146], v[145:146], v[94:95]
	v_add_f64 v[191:192], v[66:67], -v[76:77]
	v_fma_f64 v[86:87], v[179:180], s[10:11], v[175:176]
	v_add_f64 v[193:194], v[68:69], -v[70:71]
	v_add_f64 v[84:85], v[84:85], -v[94:95]
	v_add_f64 v[40:41], v[40:41], v[76:77]
	v_fma_f64 v[189:190], v[181:182], s[0:1], v[153:154]
	v_fma_f64 v[94:95], v[179:180], s[0:1], v[175:176]
	;; [unrolled: 1-line block ×6, first 2 shown]
	v_add_f64 v[153:154], v[185:186], v[187:188]
	v_add_f64 v[185:186], v[191:192], v[193:194]
	v_fma_f64 v[175:176], v[179:180], s[14:15], v[189:190]
	v_fma_f64 v[94:95], v[181:182], s[18:19], v[94:95]
	;; [unrolled: 1-line block ×4, first 2 shown]
	v_add_f64 v[40:41], v[40:41], v[66:67]
	v_fma_f64 v[66:67], v[177:178], s[18:19], v[183:184]
	v_fma_f64 v[76:77], v[153:154], s[16:17], v[76:77]
	;; [unrolled: 1-line block ×3, first 2 shown]
	v_add_f64 v[82:83], v[82:83], v[84:85]
	v_fma_f64 v[84:85], v[185:186], s[16:17], v[175:176]
	v_fma_f64 v[94:95], v[153:154], s[16:17], v[94:95]
	;; [unrolled: 1-line block ×4, first 2 shown]
	v_add_f64 v[40:41], v[40:41], v[68:69]
	v_mul_f64 v[153:154], v[76:77], s[18:19]
	v_fma_f64 v[86:87], v[185:186], s[16:17], v[86:87]
	v_fma_f64 v[66:67], v[82:83], s[16:17], v[66:67]
	v_mul_f64 v[159:160], v[84:85], s[0:1]
	v_mul_f64 v[76:77], v[76:77], s[22:23]
	;; [unrolled: 1-line block ×3, first 2 shown]
	v_fma_f64 v[68:69], v[173:174], s[16:17], v[171:172]
	v_fma_f64 v[80:81], v[82:83], s[16:17], v[80:81]
	v_fma_f64 v[153:154], v[147:148], s[22:23], v[153:154]
	v_add_f64 v[40:41], v[40:41], v[70:71]
	v_add_f64 v[70:71], v[151:152], v[145:146]
	v_mul_f64 v[82:83], v[86:87], s[0:1]
	v_mul_f64 v[171:172], v[94:95], s[18:19]
	v_fma_f64 v[159:160], v[66:67], s[16:17], v[159:160]
	v_mul_f64 v[94:95], v[94:95], s[24:25]
	v_fma_f64 v[76:77], v[147:148], s[14:15], v[76:77]
	v_add_f64 v[173:174], v[155:156], v[153:154]
	v_fma_f64 v[66:67], v[66:67], s[10:11], v[84:85]
	v_add_f64 v[177:178], v[30:31], v[32:33]
	v_add_f64 v[145:146], v[151:152], -v[145:146]
	v_add_f64 v[151:152], v[155:156], -v[153:154]
	v_add_f64 v[155:156], v[48:49], v[28:29]
	v_mul_f64 v[86:87], v[86:87], s[20:21]
	v_fma_f64 v[82:83], v[80:81], s[20:21], v[82:83]
	v_fma_f64 v[171:172], v[68:69], s[24:25], v[171:172]
	v_add_f64 v[147:148], v[165:166], v[159:160]
	v_fma_f64 v[68:69], v[68:69], s[14:15], v[94:95]
	v_add_f64 v[94:95], v[163:164], v[40:41]
	v_add_f64 v[175:176], v[167:168], v[76:77]
	;; [unrolled: 1-line block ×3, first 2 shown]
	v_add_f64 v[153:154], v[165:166], -v[159:160]
	v_fma_f64 v[159:160], v[177:178], -0.5, v[48:49]
	v_add_f64 v[165:166], v[20:21], -v[26:27]
	v_add_f64 v[163:164], v[163:164], -v[40:41]
	;; [unrolled: 1-line block ×3, first 2 shown]
	v_add_f64 v[40:41], v[28:29], v[34:35]
	v_add_f64 v[167:168], v[169:170], -v[66:67]
	v_add_f64 v[66:67], v[155:156], v[30:31]
	v_fma_f64 v[80:81], v[80:81], s[10:11], v[86:87]
	v_add_f64 v[84:85], v[157:158], v[82:83]
	v_add_f64 v[86:87], v[161:162], v[171:172]
	v_add_f64 v[157:158], v[157:158], -v[82:83]
	v_add_f64 v[161:162], v[161:162], -v[171:172]
	v_fma_f64 v[82:83], v[165:166], s[0:1], v[159:160]
	v_add_f64 v[155:156], v[24:25], -v[22:23]
	v_add_f64 v[169:170], v[28:29], -v[30:31]
	;; [unrolled: 1-line block ×3, first 2 shown]
	v_fma_f64 v[159:160], v[165:166], s[10:11], v[159:160]
	v_fma_f64 v[40:41], v[40:41], -0.5, v[48:49]
	v_add_f64 v[48:49], v[66:67], v[32:33]
	v_add_f64 v[66:67], v[24:25], v[22:23]
	;; [unrolled: 1-line block ×5, first 2 shown]
	v_add_f64 v[80:81], v[143:144], -v[80:81]
	v_add_f64 v[143:144], v[149:150], -v[68:69]
	v_fma_f64 v[68:69], v[155:156], s[18:19], v[82:83]
	v_add_f64 v[82:83], v[169:170], v[171:172]
	v_fma_f64 v[149:150], v[155:156], s[14:15], v[159:160]
	v_fma_f64 v[159:160], v[155:156], s[10:11], v[40:41]
	v_add_f64 v[169:170], v[30:31], -v[28:29]
	v_add_f64 v[171:172], v[32:33], -v[34:35]
	v_fma_f64 v[66:67], v[66:67], -0.5, v[50:51]
	v_add_f64 v[28:29], v[28:29], -v[34:35]
	v_fma_f64 v[40:41], v[155:156], s[0:1], v[40:41]
	v_add_f64 v[155:156], v[177:178], v[24:25]
	v_add_f64 v[34:35], v[48:49], v[34:35]
	v_fma_f64 v[48:49], v[82:83], s[16:17], v[68:69]
	v_fma_f64 v[68:69], v[82:83], s[16:17], v[149:150]
	;; [unrolled: 1-line block ×3, first 2 shown]
	v_add_f64 v[149:150], v[169:170], v[171:172]
	v_fma_f64 v[159:160], v[28:29], s[10:11], v[66:67]
	v_add_f64 v[30:31], v[30:31], -v[32:33]
	v_add_f64 v[32:33], v[20:21], -v[24:25]
	;; [unrolled: 1-line block ×3, first 2 shown]
	v_fma_f64 v[66:67], v[28:29], s[0:1], v[66:67]
	v_add_f64 v[171:172], v[20:21], v[26:27]
	v_fma_f64 v[40:41], v[165:166], s[14:15], v[40:41]
	v_add_f64 v[155:156], v[155:156], v[22:23]
	v_add_f64 v[165:166], v[16:17], v[14:15]
	v_fma_f64 v[159:160], v[30:31], s[14:15], v[159:160]
	v_fma_f64 v[82:83], v[149:150], s[16:17], v[82:83]
	v_add_f64 v[32:33], v[32:33], v[169:170]
	v_fma_f64 v[66:67], v[30:31], s[18:19], v[66:67]
	v_fma_f64 v[50:51], v[171:172], -0.5, v[50:51]
	v_fma_f64 v[40:41], v[149:150], s[16:17], v[40:41]
	v_add_f64 v[149:150], v[155:156], v[26:27]
	v_add_f64 v[155:156], v[18:19], v[8:9]
	v_fma_f64 v[165:166], v[165:166], -0.5, v[18:19]
	v_add_f64 v[169:170], v[6:7], -v[0:1]
	v_fma_f64 v[159:160], v[32:33], s[16:17], v[159:160]
	v_fma_f64 v[32:33], v[32:33], s[16:17], v[66:67]
	;; [unrolled: 1-line block ×3, first 2 shown]
	v_add_f64 v[20:21], v[24:25], -v[20:21]
	v_add_f64 v[22:23], v[22:23], -v[26:27]
	v_fma_f64 v[24:25], v[30:31], s[10:11], v[50:51]
	v_add_f64 v[171:172], v[8:9], -v[16:17]
	v_add_f64 v[177:178], v[10:11], -v[14:15]
	v_add_f64 v[26:27], v[155:156], v[16:17]
	v_fma_f64 v[30:31], v[169:170], s[0:1], v[165:166]
	v_add_f64 v[50:51], v[12:13], -v[4:5]
	v_add_f64 v[155:156], v[8:9], v[10:11]
	v_add_f64 v[185:186], v[12:13], v[4:5]
	v_fma_f64 v[66:67], v[28:29], s[14:15], v[66:67]
	v_add_f64 v[20:21], v[20:21], v[22:23]
	v_fma_f64 v[22:23], v[28:29], s[18:19], v[24:25]
	v_add_f64 v[28:29], v[171:172], v[177:178]
	v_add_f64 v[171:172], v[6:7], v[0:1]
	;; [unrolled: 1-line block ×3, first 2 shown]
	v_fma_f64 v[18:19], v[155:156], -0.5, v[18:19]
	v_fma_f64 v[26:27], v[50:51], s[18:19], v[30:31]
	v_fma_f64 v[30:31], v[185:186], -0.5, v[2:3]
	v_add_f64 v[155:156], v[8:9], -v[10:11]
	v_add_f64 v[185:186], v[16:17], -v[14:15]
	v_fma_f64 v[66:67], v[20:21], s[16:17], v[66:67]
	v_fma_f64 v[171:172], v[171:172], -0.5, v[2:3]
	v_fma_f64 v[20:21], v[20:21], s[16:17], v[22:23]
	v_add_f64 v[22:23], v[24:25], v[10:11]
	v_fma_f64 v[24:25], v[28:29], s[16:17], v[26:27]
	v_add_f64 v[8:9], v[16:17], -v[8:9]
	v_fma_f64 v[26:27], v[155:156], s[10:11], v[30:31]
	v_add_f64 v[16:17], v[6:7], -v[12:13]
	v_add_f64 v[187:188], v[0:1], -v[4:5]
	v_add_f64 v[2:3], v[2:3], v[6:7]
	v_fma_f64 v[189:190], v[185:186], s[0:1], v[171:172]
	v_add_f64 v[6:7], v[12:13], -v[6:7]
	v_add_f64 v[191:192], v[4:5], -v[0:1]
	v_fma_f64 v[171:172], v[185:186], s[10:11], v[171:172]
	v_fma_f64 v[30:31], v[155:156], s[0:1], v[30:31]
	;; [unrolled: 1-line block ×3, first 2 shown]
	v_add_f64 v[16:17], v[16:17], v[187:188]
	v_fma_f64 v[165:166], v[169:170], s[10:11], v[165:166]
	v_fma_f64 v[177:178], v[50:51], s[10:11], v[18:19]
	v_add_f64 v[10:11], v[14:15], -v[10:11]
	v_fma_f64 v[14:15], v[50:51], s[0:1], v[18:19]
	v_add_f64 v[2:3], v[2:3], v[12:13]
	v_fma_f64 v[12:13], v[155:156], s[14:15], v[189:190]
	v_add_f64 v[6:7], v[6:7], v[191:192]
	v_fma_f64 v[18:19], v[155:156], s[18:19], v[171:172]
	v_fma_f64 v[30:31], v[185:186], s[18:19], v[30:31]
	;; [unrolled: 1-line block ×5, first 2 shown]
	v_add_f64 v[8:9], v[8:9], v[10:11]
	v_fma_f64 v[10:11], v[169:170], s[14:15], v[14:15]
	v_fma_f64 v[12:13], v[6:7], s[16:17], v[12:13]
	;; [unrolled: 1-line block ×4, first 2 shown]
	v_mul_f64 v[16:17], v[26:27], s[18:19]
	v_add_f64 v[2:3], v[2:3], v[4:5]
	v_fma_f64 v[4:5], v[28:29], s[16:17], v[165:166]
	v_fma_f64 v[18:19], v[8:9], s[16:17], v[177:178]
	;; [unrolled: 1-line block ×3, first 2 shown]
	v_mul_f64 v[10:11], v[12:13], s[0:1]
	v_mul_f64 v[28:29], v[6:7], s[0:1]
	;; [unrolled: 1-line block ×3, first 2 shown]
	v_fma_f64 v[16:17], v[24:25], s[22:23], v[16:17]
	v_mul_f64 v[26:27], v[26:27], s[22:23]
	v_mul_f64 v[12:13], v[12:13], s[16:17]
	;; [unrolled: 1-line block ×4, first 2 shown]
	v_fma_f64 v[10:11], v[18:19], s[16:17], v[10:11]
	v_fma_f64 v[28:29], v[8:9], s[20:21], v[28:29]
	;; [unrolled: 1-line block ×3, first 2 shown]
	v_add_f64 v[0:1], v[2:3], v[0:1]
	v_add_f64 v[2:3], v[34:35], v[22:23]
	;; [unrolled: 1-line block ×3, first 2 shown]
	v_fma_f64 v[24:25], v[24:25], s[14:15], v[26:27]
	v_fma_f64 v[12:13], v[18:19], s[10:11], v[12:13]
	v_fma_f64 v[6:7], v[8:9], s[10:11], v[6:7]
	v_fma_f64 v[4:5], v[4:5], s[14:15], v[14:15]
	v_add_f64 v[8:9], v[82:83], v[10:11]
	v_add_f64 v[14:15], v[40:41], v[28:29]
	;; [unrolled: 1-line block ×3, first 2 shown]
	v_add_f64 v[22:23], v[34:35], -v[22:23]
	v_add_f64 v[16:17], v[48:49], -v[16:17]
	;; [unrolled: 1-line block ×3, first 2 shown]
	v_mov_b32_e32 v82, 3
	v_add_f64 v[155:156], v[149:150], v[0:1]
	v_add_f64 v[26:27], v[40:41], -v[28:29]
	v_add_f64 v[28:29], v[68:69], -v[30:31]
	;; [unrolled: 1-line block ×3, first 2 shown]
	v_mul_u32_u24_e32 v0, 0xf0, v137
	v_lshlrev_b32_sdwa v1, v82, v138 dst_sel:DWORD dst_unused:UNUSED_PAD src0_sel:DWORD src1_sel:BYTE_0
	v_add3_u32 v83, 0, v0, v1
	v_mul_u32_u24_e32 v0, 0xf0, v139
	v_lshlrev_b32_sdwa v1, v82, v140 dst_sel:DWORD dst_unused:UNUSED_PAD src0_sel:DWORD src1_sel:BYTE_0
	ds_write2_b64 v83, v[36:37], v[38:39] offset1:3
	ds_write2_b64 v83, v[44:45], v[72:73] offset0:6 offset1:9
	ds_write2_b64 v83, v[74:75], v[88:89] offset0:12 offset1:15
	;; [unrolled: 1-line block ×4, first 2 shown]
	v_add3_u32 v74, 0, v0, v1
	v_mul_u32_u24_e32 v0, 0xf0, v141
	v_lshlrev_b32_e32 v1, 3, v142
	v_add3_u32 v75, 0, v0, v1
	v_add_f64 v[165:166], v[159:160], v[24:25]
	v_add_f64 v[169:170], v[66:67], v[12:13]
	;; [unrolled: 1-line block ×4, first 2 shown]
	v_add_f64 v[159:160], v[159:160], -v[24:25]
	v_add_f64 v[185:186], v[66:67], -v[12:13]
	;; [unrolled: 1-line block ×4, first 2 shown]
	ds_write2_b64 v74, v[70:71], v[173:174] offset1:3
	ds_write2_b64 v74, v[147:148], v[84:85] offset0:6 offset1:9
	ds_write2_b64 v74, v[86:87], v[145:146] offset0:12 offset1:15
	;; [unrolled: 1-line block ×4, first 2 shown]
	ds_write2_b64 v75, v[2:3], v[50:51] offset1:3
	ds_write2_b64 v75, v[8:9], v[14:15] offset0:6 offset1:9
	ds_write2_b64 v75, v[18:19], v[22:23] offset0:12 offset1:15
	;; [unrolled: 1-line block ×4, first 2 shown]
	s_waitcnt lgkmcnt(0)
	s_barrier
	ds_read_b64 v[97:98], v119
	ds_read_b64 v[228:229], v133
	ds_read2_b64 v[66:69], v105 offset0:56 offset1:146
	ds_read2_b64 v[16:19], v109 offset0:108 offset1:198
	;; [unrolled: 1-line block ×6, first 2 shown]
	ds_read_b64 v[48:49], v100
	ds_read_b64 v[44:45], v104
	ds_read2_b64 v[32:35], v134 offset0:104 offset1:194
	ds_read2_b64 v[28:31], v135 offset0:118 offset1:208
	;; [unrolled: 1-line block ×6, first 2 shown]
	ds_read_b64 v[230:231], v132
	ds_read_b64 v[40:41], v107
	s_waitcnt lgkmcnt(0)
	s_barrier
	ds_write2_b64 v83, v[42:43], v[46:47] offset1:3
	ds_write2_b64 v83, v[54:55], v[56:57] offset0:6 offset1:9
	ds_write2_b64 v83, v[58:59], v[60:61] offset0:12 offset1:15
	ds_write2_b64 v83, v[62:63], v[64:65] offset0:18 offset1:21
	ds_write2_b64 v83, v[52:53], v[78:79] offset0:24 offset1:27
	ds_write2_b64 v74, v[94:95], v[175:176] offset1:3
	ds_write2_b64 v74, v[179:180], v[181:182] offset0:6 offset1:9
	ds_write2_b64 v74, v[183:184], v[163:164] offset0:12 offset1:15
	ds_write2_b64 v74, v[76:77], v[167:168] offset0:18 offset1:21
	ds_write2_b64 v74, v[80:81], v[143:144] offset0:24 offset1:27
	;; [unrolled: 5-line block ×3, first 2 shown]
	v_mul_lo_u16_sdwa v42, v122, s26 dst_sel:DWORD dst_unused:UNUSED_PAD src0_sel:BYTE_0 src1_sel:DWORD
	v_lshrrev_b16_e32 v83, 12, v42
	v_mul_lo_u16_e32 v42, 30, v83
	v_sub_u16_e32 v84, v122, v42
	v_mul_u32_u24_sdwa v42, v84, v136 dst_sel:DWORD dst_unused:UNUSED_PAD src0_sel:BYTE_0 src1_sel:DWORD
	v_lshlrev_b32_e32 v42, 4, v42
	s_waitcnt lgkmcnt(0)
	s_barrier
	global_load_dwordx4 v[50:53], v42, s[8:9] offset:432
	global_load_dwordx4 v[54:57], v42, s[8:9] offset:448
	;; [unrolled: 1-line block ×4, first 2 shown]
	v_mul_lo_u16_sdwa v43, v130, s26 dst_sel:DWORD dst_unused:UNUSED_PAD src0_sel:BYTE_0 src1_sel:DWORD
	global_load_dwordx4 v[74:77], v42, s[8:9] offset:496
	v_lshrrev_b16_e32 v85, 12, v43
	v_mul_lo_u16_e32 v43, 30, v85
	v_sub_u16_e32 v86, v130, v43
	v_mul_u32_u24_sdwa v43, v86, v136 dst_sel:DWORD dst_unused:UNUSED_PAD src0_sel:BYTE_0 src1_sel:DWORD
	v_lshlrev_b32_e32 v87, 4, v43
	global_load_dwordx4 v[78:81], v87, s[8:9] offset:480
	global_load_dwordx4 v[89:92], v42, s[8:9] offset:512
	;; [unrolled: 1-line block ×8, first 2 shown]
	ds_read_b64 v[232:233], v132
	ds_read_b64 v[234:235], v119
	;; [unrolled: 1-line block ×3, first 2 shown]
	ds_read2_b64 v[156:159], v105 offset0:56 offset1:146
	ds_read2_b64 v[160:163], v109 offset0:108 offset1:198
	global_load_dwordx4 v[164:167], v87, s[8:9] offset:528
	global_load_dwordx4 v[168:171], v87, s[8:9] offset:512
	ds_read2_b64 v[172:175], v117 offset0:84 offset1:174
	ds_read2_b64 v[176:179], v102 offset0:8 offset1:98
	;; [unrolled: 1-line block ×4, first 2 shown]
	global_load_dwordx4 v[188:191], v87, s[8:9] offset:496
	ds_read_b64 v[238:239], v100
	ds_read_b64 v[46:47], v104
	ds_read2_b64 v[192:195], v134 offset0:104 offset1:194
	ds_read2_b64 v[196:199], v135 offset0:118 offset1:208
	ds_read_b64 v[42:43], v107
	global_load_dwordx4 v[200:203], v87, s[8:9] offset:544
	global_load_dwordx4 v[204:207], v87, s[8:9] offset:560
	v_mul_u32_u24_sdwa v87, v131, s27 dst_sel:DWORD dst_unused:UNUSED_PAD src0_sel:WORD_0 src1_sel:DWORD
	v_lshrrev_b32_e32 v87, 20, v87
	v_mul_lo_u16_e32 v88, 30, v87
	v_sub_u16_e32 v88, v131, v88
	v_mul_u32_u24_e32 v99, 9, v88
	v_lshlrev_b32_e32 v99, 4, v99
	global_load_dwordx4 v[208:211], v99, s[8:9] offset:448
	global_load_dwordx4 v[212:215], v99, s[8:9] offset:432
	ds_read2_b64 v[216:219], v103 offset0:132 offset1:222
	global_load_dwordx4 v[220:223], v99, s[8:9] offset:480
	global_load_dwordx4 v[224:227], v99, s[8:9] offset:464
	s_movk_i32 s26, 0x1000
	s_waitcnt vmcnt(21) lgkmcnt(14)
	v_mul_f64 v[134:135], v[232:233], v[52:53]
	v_mul_f64 v[52:53], v[230:231], v[52:53]
	s_waitcnt vmcnt(20) lgkmcnt(13)
	v_mul_f64 v[240:241], v[234:235], v[56:57]
	v_mul_f64 v[56:57], v[97:98], v[56:57]
	;; [unrolled: 3-line block ×3, first 2 shown]
	s_waitcnt vmcnt(16) lgkmcnt(11)
	v_mul_f64 v[244:245], v[158:159], v[80:81]
	v_fma_f64 v[134:135], v[230:231], v[50:51], v[134:135]
	v_fma_f64 v[230:231], v[232:233], v[50:51], -v[52:53]
	v_mul_f64 v[232:233], v[156:157], v[64:65]
	v_fma_f64 v[97:98], v[97:98], v[54:55], v[240:241]
	v_fma_f64 v[234:235], v[234:235], v[54:55], -v[56:57]
	v_fma_f64 v[228:229], v[228:229], v[58:59], v[242:243]
	global_load_dwordx4 v[50:53], v99, s[8:9] offset:512
	global_load_dwordx4 v[54:57], v99, s[8:9] offset:496
	v_mul_f64 v[240:241], v[66:67], v[64:65]
	v_fma_f64 v[236:237], v[236:237], v[58:59], -v[60:61]
	s_waitcnt lgkmcnt(10)
	v_mul_f64 v[242:243], v[162:163], v[76:77]
	v_fma_f64 v[232:233], v[66:67], v[62:63], v[232:233]
	global_load_dwordx4 v[58:61], v99, s[8:9] offset:544
	global_load_dwordx4 v[64:67], v99, s[8:9] offset:528
	v_mul_f64 v[76:77], v[18:19], v[76:77]
	v_fma_f64 v[62:63], v[156:157], v[62:63], -v[240:241]
	s_waitcnt vmcnt(19) lgkmcnt(9)
	v_mul_f64 v[156:157], v[172:173], v[91:92]
	v_fma_f64 v[240:241], v[18:19], v[74:75], v[242:243]
	v_mul_f64 v[18:19], v[68:69], v[80:81]
	v_mul_f64 v[80:81], v[70:71], v[91:92]
	v_fma_f64 v[242:243], v[68:69], v[78:79], v[244:245]
	s_waitcnt vmcnt(18) lgkmcnt(8)
	v_mul_f64 v[91:92], v[178:179], v[95:96]
	v_mul_f64 v[95:96], v[10:11], v[95:96]
	v_fma_f64 v[162:163], v[162:163], v[74:75], -v[76:77]
	v_fma_f64 v[156:157], v[70:71], v[89:90], v[156:157]
	global_load_dwordx4 v[68:71], v99, s[8:9] offset:560
	v_fma_f64 v[158:159], v[158:159], v[78:79], -v[18:19]
	s_waitcnt vmcnt(18) lgkmcnt(7)
	v_mul_f64 v[18:19], v[180:181], v[138:139]
	v_mul_f64 v[78:79], v[36:37], v[138:139]
	v_fma_f64 v[138:139], v[172:173], v[89:90], -v[80:81]
	v_fma_f64 v[172:173], v[10:11], v[93:94], v[91:92]
	s_waitcnt vmcnt(17) lgkmcnt(6)
	v_mul_f64 v[10:11], v[186:187], v[142:143]
	v_fma_f64 v[93:94], v[178:179], v[93:94], -v[95:96]
	v_mul_f64 v[80:81], v[6:7], v[142:143]
	s_waitcnt vmcnt(16) lgkmcnt(3)
	v_mul_f64 v[89:90], v[192:193], v[146:147]
	v_fma_f64 v[36:37], v[36:37], v[136:137], v[18:19]
	v_fma_f64 v[95:96], v[180:181], v[136:137], -v[78:79]
	v_mul_f64 v[18:19], v[32:33], v[146:147]
	s_waitcnt vmcnt(15) lgkmcnt(2)
	v_mul_f64 v[78:79], v[196:197], v[150:151]
	v_fma_f64 v[136:137], v[6:7], v[140:141], v[10:11]
	v_mul_f64 v[6:7], v[28:29], v[150:151]
	s_waitcnt vmcnt(14) lgkmcnt(0)
	v_mul_f64 v[10:11], v[216:217], v[154:155]
	v_fma_f64 v[142:143], v[32:33], v[144:145], v[89:90]
	ds_read2_b64 v[74:77], v112 offset0:160 offset1:250
	v_fma_f64 v[140:141], v[186:187], v[140:141], -v[80:81]
	v_fma_f64 v[144:145], v[192:193], v[144:145], -v[18:19]
	v_fma_f64 v[146:147], v[28:29], v[148:149], v[78:79]
	s_waitcnt vmcnt(12)
	v_mul_f64 v[18:19], v[174:175], v[170:171]
	v_fma_f64 v[148:149], v[196:197], v[148:149], -v[6:7]
	v_mul_f64 v[6:7], v[72:73], v[170:171]
	ds_read2_b64 v[78:81], v106 offset0:60 offset1:150
	v_mul_f64 v[32:33], v[24:25], v[154:155]
	v_fma_f64 v[150:151], v[24:25], v[152:153], v[10:11]
	s_waitcnt vmcnt(11) lgkmcnt(1)
	v_mul_f64 v[10:11], v[74:75], v[190:191]
	v_mul_f64 v[24:25], v[20:21], v[190:191]
	v_fma_f64 v[154:155], v[72:73], v[168:169], v[18:19]
	ds_read2_b64 v[89:92], v118 offset0:88 offset1:178
	v_fma_f64 v[168:169], v[174:175], v[168:169], -v[6:7]
	s_waitcnt lgkmcnt(1)
	v_mul_f64 v[6:7], v[78:79], v[166:167]
	v_mul_f64 v[18:19], v[12:13], v[166:167]
	s_waitcnt vmcnt(10)
	v_mul_f64 v[28:29], v[182:183], v[202:203]
	v_fma_f64 v[166:167], v[20:21], v[188:189], v[10:11]
	v_mul_f64 v[10:11], v[38:39], v[202:203]
	v_fma_f64 v[170:171], v[74:75], v[188:189], -v[24:25]
	s_waitcnt vmcnt(9) lgkmcnt(0)
	v_mul_f64 v[20:21], v[89:90], v[206:207]
	v_mul_f64 v[24:25], v[0:1], v[206:207]
	v_fma_f64 v[174:175], v[12:13], v[164:165], v[6:7]
	s_waitcnt vmcnt(7)
	v_mul_f64 v[6:7], v[194:195], v[214:215]
	v_mul_f64 v[12:13], v[198:199], v[210:211]
	v_fma_f64 v[152:153], v[216:217], v[152:153], -v[32:33]
	v_fma_f64 v[164:165], v[78:79], v[164:165], -v[18:19]
	v_fma_f64 v[178:179], v[38:39], v[200:201], v[28:29]
	v_fma_f64 v[180:181], v[182:183], v[200:201], -v[10:11]
	v_mul_f64 v[10:11], v[34:35], v[214:215]
	v_fma_f64 v[182:183], v[0:1], v[204:205], v[20:21]
	v_fma_f64 v[89:90], v[89:90], v[204:205], -v[24:25]
	v_mul_f64 v[20:21], v[30:31], v[210:211]
	s_waitcnt vmcnt(5)
	v_mul_f64 v[24:25], v[218:219], v[226:227]
	v_fma_f64 v[18:19], v[34:35], v[212:213], v[6:7]
	v_mul_f64 v[32:33], v[160:161], v[222:223]
	v_mul_f64 v[34:35], v[16:17], v[222:223]
	v_fma_f64 v[28:29], v[30:31], v[208:209], v[12:13]
	v_mul_f64 v[6:7], v[26:27], v[226:227]
	v_fma_f64 v[0:1], v[194:195], v[212:213], -v[10:11]
	v_add_f64 v[72:73], v[36:37], -v[156:157]
	v_fma_f64 v[10:11], v[26:27], v[224:225], v[24:25]
	s_waitcnt vmcnt(3)
	v_mul_f64 v[30:31], v[22:23], v[56:57]
	v_mul_f64 v[12:13], v[76:77], v[56:57]
	v_fma_f64 v[26:27], v[16:17], v[220:221], v[32:33]
	v_fma_f64 v[24:25], v[160:161], v[220:221], -v[34:35]
	v_mul_f64 v[32:33], v[176:177], v[52:53]
	s_waitcnt vmcnt(1)
	v_mul_f64 v[38:39], v[80:81], v[66:67]
	v_mul_f64 v[34:35], v[8:9], v[52:53]
	v_add_f64 v[52:53], v[232:233], v[156:157]
	v_fma_f64 v[16:17], v[76:77], v[54:55], -v[30:31]
	v_mul_f64 v[30:31], v[14:15], v[66:67]
	v_fma_f64 v[12:13], v[22:23], v[54:55], v[12:13]
	v_mul_f64 v[54:55], v[184:185], v[60:61]
	v_fma_f64 v[32:33], v[8:9], v[50:51], v[32:33]
	v_fma_f64 v[14:15], v[14:15], v[64:65], v[38:39]
	v_add_f64 v[38:39], v[48:49], v[97:98]
	v_fma_f64 v[22:23], v[176:177], v[50:51], -v[34:35]
	v_fma_f64 v[50:51], v[52:53], -0.5, v[48:49]
	v_add_f64 v[52:53], v[234:235], -v[95:96]
	v_add_f64 v[56:57], v[97:98], v[36:37]
	v_fma_f64 v[8:9], v[80:81], v[64:65], -v[30:31]
	v_fma_f64 v[34:35], v[4:5], v[58:59], v[54:55]
	v_mul_f64 v[4:5], v[4:5], v[60:61]
	v_add_f64 v[38:39], v[38:39], v[232:233]
	s_waitcnt vmcnt(0)
	v_mul_f64 v[54:55], v[91:92], v[70:71]
	v_mul_f64 v[60:61], v[2:3], v[70:71]
	v_fma_f64 v[64:65], v[52:53], s[0:1], v[50:51]
	v_add_f64 v[66:67], v[62:63], -v[138:139]
	v_add_f64 v[70:71], v[97:98], -v[232:233]
	v_fma_f64 v[48:49], v[56:57], -0.5, v[48:49]
	v_add_f64 v[56:57], v[62:63], v[138:139]
	v_add_f64 v[38:39], v[38:39], v[156:157]
	v_fma_f64 v[30:31], v[184:185], v[58:59], -v[4:5]
	v_fma_f64 v[4:5], v[2:3], v[68:69], v[54:55]
	v_fma_f64 v[2:3], v[91:92], v[68:69], -v[60:61]
	v_fma_f64 v[54:55], v[66:67], s[18:19], v[64:65]
	v_add_f64 v[58:59], v[70:71], v[72:73]
	v_fma_f64 v[50:51], v[52:53], s[10:11], v[50:51]
	v_fma_f64 v[60:61], v[66:67], s[10:11], v[48:49]
	v_add_f64 v[64:65], v[232:233], -v[97:98]
	v_add_f64 v[68:69], v[156:157], -v[36:37]
	v_add_f64 v[70:71], v[38:39], v[36:37]
	v_add_f64 v[38:39], v[238:239], v[234:235]
	v_fma_f64 v[56:57], v[56:57], -0.5, v[238:239]
	v_add_f64 v[36:37], v[97:98], -v[36:37]
	v_fma_f64 v[74:75], v[58:59], s[16:17], v[54:55]
	v_fma_f64 v[50:51], v[66:67], s[14:15], v[50:51]
	;; [unrolled: 1-line block ×3, first 2 shown]
	v_add_f64 v[60:61], v[64:65], v[68:69]
	v_fma_f64 v[48:49], v[66:67], s[0:1], v[48:49]
	v_add_f64 v[38:39], v[38:39], v[62:63]
	v_add_f64 v[64:65], v[234:235], v[95:96]
	v_fma_f64 v[66:67], v[36:37], s[10:11], v[56:57]
	v_add_f64 v[68:69], v[232:233], -v[156:157]
	v_add_f64 v[72:73], v[234:235], -v[62:63]
	v_add_f64 v[76:77], v[95:96], -v[138:139]
	v_fma_f64 v[80:81], v[58:59], s[16:17], v[50:51]
	v_fma_f64 v[48:49], v[52:53], s[14:15], v[48:49]
	v_add_f64 v[38:39], v[38:39], v[138:139]
	v_fma_f64 v[50:51], v[64:65], -0.5, v[238:239]
	v_fma_f64 v[64:65], v[60:61], s[16:17], v[54:55]
	v_add_f64 v[52:53], v[240:241], v[172:173]
	v_fma_f64 v[54:55], v[68:69], s[14:15], v[66:67]
	v_add_f64 v[58:59], v[72:73], v[76:77]
	v_fma_f64 v[56:57], v[36:37], s[0:1], v[56:57]
	v_fma_f64 v[66:67], v[60:61], s[16:17], v[48:49]
	v_add_f64 v[91:92], v[38:39], v[95:96]
	v_fma_f64 v[38:39], v[68:69], s[0:1], v[50:51]
	v_add_f64 v[48:49], v[134:135], v[228:229]
	v_fma_f64 v[52:53], v[52:53], -0.5, v[134:135]
	v_add_f64 v[60:61], v[236:237], -v[140:141]
	v_fma_f64 v[97:98], v[58:59], s[16:17], v[54:55]
	v_fma_f64 v[54:55], v[68:69], s[18:19], v[56:57]
	v_add_f64 v[56:57], v[62:63], -v[234:235]
	v_add_f64 v[62:63], v[138:139], -v[95:96]
	v_fma_f64 v[38:39], v[36:37], s[14:15], v[38:39]
	v_fma_f64 v[50:51], v[68:69], s[10:11], v[50:51]
	v_add_f64 v[48:49], v[48:49], v[240:241]
	v_fma_f64 v[68:69], v[60:61], s[0:1], v[52:53]
	v_add_f64 v[72:73], v[162:163], -v[93:94]
	v_add_f64 v[76:77], v[228:229], -v[240:241]
	v_add_f64 v[78:79], v[136:137], -v[172:173]
	v_add_f64 v[56:57], v[56:57], v[62:63]
	v_fma_f64 v[95:96], v[58:59], s[16:17], v[54:55]
	v_fma_f64 v[36:37], v[36:37], s[18:19], v[50:51]
	v_add_f64 v[50:51], v[228:229], v[136:137]
	v_add_f64 v[48:49], v[48:49], v[172:173]
	;; [unrolled: 1-line block ×3, first 2 shown]
	v_fma_f64 v[58:59], v[72:73], s[18:19], v[68:69]
	v_add_f64 v[62:63], v[76:77], v[78:79]
	v_fma_f64 v[68:69], v[56:57], s[16:17], v[38:39]
	v_add_f64 v[38:39], v[236:237], v[140:141]
	v_fma_f64 v[138:139], v[56:57], s[16:17], v[36:37]
	v_fma_f64 v[36:37], v[50:51], -0.5, v[134:135]
	v_add_f64 v[76:77], v[48:49], v[136:137]
	v_fma_f64 v[48:49], v[54:55], -0.5, v[230:231]
	v_add_f64 v[50:51], v[228:229], -v[136:137]
	v_add_f64 v[56:57], v[240:241], -v[172:173]
	;; [unrolled: 1-line block ×3, first 2 shown]
	v_fma_f64 v[38:39], v[38:39], -0.5, v[230:231]
	v_add_f64 v[156:157], v[236:237], -v[162:163]
	v_add_f64 v[160:161], v[140:141], -v[93:94]
	;; [unrolled: 1-line block ×4, first 2 shown]
	v_fma_f64 v[136:137], v[50:51], s[10:11], v[48:49]
	v_fma_f64 v[54:55], v[62:63], s[16:17], v[58:59]
	;; [unrolled: 1-line block ×6, first 2 shown]
	v_add_f64 v[78:79], v[240:241], -v[228:229]
	v_fma_f64 v[36:37], v[72:73], s[0:1], v[36:37]
	v_add_f64 v[186:187], v[230:231], v[236:237]
	v_fma_f64 v[136:137], v[56:57], s[14:15], v[136:137]
	v_fma_f64 v[48:49], v[50:51], s[0:1], v[48:49]
	v_add_f64 v[156:157], v[156:157], v[160:161]
	v_fma_f64 v[160:161], v[50:51], s[14:15], v[172:173]
	v_add_f64 v[172:173], v[176:177], v[184:185]
	v_fma_f64 v[38:39], v[50:51], s[18:19], v[38:39]
	v_fma_f64 v[50:51], v[60:61], s[18:19], v[58:59]
	v_add_f64 v[58:59], v[186:187], v[162:163]
	v_add_f64 v[78:79], v[78:79], v[134:135]
	v_fma_f64 v[48:49], v[56:57], s[18:19], v[48:49]
	v_fma_f64 v[56:57], v[156:157], s[16:17], v[136:137]
	;; [unrolled: 1-line block ×6, first 2 shown]
	v_add_f64 v[58:59], v[58:59], v[93:94]
	v_fma_f64 v[50:51], v[78:79], s[16:17], v[50:51]
	v_fma_f64 v[48:49], v[156:157], s[16:17], v[48:49]
	v_mul_f64 v[72:73], v[56:57], s[18:19]
	v_fma_f64 v[78:79], v[78:79], s[16:17], v[36:37]
	v_mul_f64 v[93:94], v[60:61], s[0:1]
	v_mul_f64 v[134:135], v[38:39], s[0:1]
	v_fma_f64 v[52:53], v[62:63], s[16:17], v[52:53]
	v_mul_f64 v[62:63], v[38:39], s[20:21]
	v_add_f64 v[136:137], v[58:59], v[140:141]
	v_mul_f64 v[58:59], v[48:49], s[18:19]
	v_fma_f64 v[140:141], v[54:55], s[22:23], v[72:73]
	v_mul_f64 v[56:57], v[56:57], s[22:23]
	v_fma_f64 v[93:94], v[50:51], s[16:17], v[93:94]
	v_fma_f64 v[134:135], v[78:79], s[20:21], v[134:135]
	v_mul_f64 v[60:61], v[60:61], s[16:17]
	v_mul_f64 v[72:73], v[48:49], s[24:25]
	v_fma_f64 v[172:173], v[78:79], s[10:11], v[62:63]
	v_add_f64 v[78:79], v[44:45], v[146:147]
	v_add_f64 v[184:185], v[242:243], v[154:155]
	v_add_f64 v[36:37], v[70:71], v[76:77]
	v_fma_f64 v[156:157], v[52:53], s[24:25], v[58:59]
	v_add_f64 v[38:39], v[74:75], v[140:141]
	v_fma_f64 v[160:161], v[54:55], s[14:15], v[56:57]
	v_add_f64 v[48:49], v[64:65], v[93:94]
	v_fma_f64 v[162:163], v[50:51], s[10:11], v[60:61]
	v_fma_f64 v[176:177], v[52:53], s[14:15], v[72:73]
	v_add_f64 v[50:51], v[91:92], v[136:137]
	v_add_f64 v[72:73], v[70:71], -v[76:77]
	v_add_f64 v[74:75], v[74:75], -v[140:141]
	;; [unrolled: 1-line block ×3, first 2 shown]
	v_add_f64 v[70:71], v[78:79], v[242:243]
	v_fma_f64 v[93:94], v[184:185], -0.5, v[44:45]
	v_add_f64 v[140:141], v[148:149], -v[180:181]
	v_add_f64 v[64:65], v[91:92], -v[136:137]
	v_add_f64 v[91:92], v[146:147], v[178:179]
	v_add_f64 v[54:55], v[66:67], v[134:135]
	;; [unrolled: 1-line block ×4, first 2 shown]
	v_add_f64 v[78:79], v[66:67], -v[134:135]
	v_add_f64 v[80:81], v[80:81], -v[156:157]
	;; [unrolled: 1-line block ×3, first 2 shown]
	v_add_f64 v[97:98], v[70:71], v[154:155]
	v_fma_f64 v[134:135], v[140:141], s[0:1], v[93:94]
	v_add_f64 v[136:137], v[158:159], -v[168:169]
	v_add_f64 v[156:157], v[146:147], -v[242:243]
	v_add_f64 v[160:161], v[178:179], -v[154:155]
	v_fma_f64 v[93:94], v[140:141], s[10:11], v[93:94]
	v_fma_f64 v[91:92], v[91:92], -0.5, v[44:45]
	v_add_f64 v[58:59], v[68:69], v[162:163]
	v_add_f64 v[60:61], v[138:139], v[172:173]
	;; [unrolled: 1-line block ×3, first 2 shown]
	v_add_f64 v[68:69], v[68:69], -v[162:163]
	v_add_f64 v[44:45], v[138:139], -v[172:173]
	;; [unrolled: 1-line block ×3, first 2 shown]
	v_add_f64 v[95:96], v[97:98], v[178:179]
	v_fma_f64 v[97:98], v[136:137], s[18:19], v[134:135]
	v_add_f64 v[134:135], v[158:159], v[168:169]
	v_add_f64 v[138:139], v[156:157], v[160:161]
	v_fma_f64 v[93:94], v[136:137], s[14:15], v[93:94]
	v_fma_f64 v[156:157], v[136:137], s[10:11], v[91:92]
	v_add_f64 v[160:161], v[242:243], -v[146:147]
	v_add_f64 v[162:163], v[154:155], -v[178:179]
	v_fma_f64 v[91:92], v[136:137], s[0:1], v[91:92]
	v_add_f64 v[136:137], v[46:47], v[148:149]
	v_fma_f64 v[134:135], v[134:135], -0.5, v[46:47]
	v_add_f64 v[146:147], v[146:147], -v[178:179]
	v_fma_f64 v[97:98], v[138:139], s[16:17], v[97:98]
	v_fma_f64 v[93:94], v[138:139], s[16:17], v[93:94]
	v_fma_f64 v[138:139], v[140:141], s[18:19], v[156:157]
	v_add_f64 v[156:157], v[160:161], v[162:163]
	v_add_f64 v[160:161], v[148:149], v[180:181]
	v_fma_f64 v[91:92], v[140:141], s[14:15], v[91:92]
	v_add_f64 v[136:137], v[136:137], v[158:159]
	v_fma_f64 v[140:141], v[146:147], s[10:11], v[134:135]
	v_add_f64 v[154:155], v[242:243], -v[154:155]
	v_add_f64 v[162:163], v[148:149], -v[158:159]
	;; [unrolled: 1-line block ×3, first 2 shown]
	v_fma_f64 v[134:135], v[146:147], s[0:1], v[134:135]
	v_fma_f64 v[46:47], v[160:161], -0.5, v[46:47]
	v_fma_f64 v[138:139], v[156:157], s[16:17], v[138:139]
	v_fma_f64 v[91:92], v[156:157], s[16:17], v[91:92]
	v_add_f64 v[156:157], v[166:167], v[174:175]
	v_add_f64 v[136:137], v[136:137], v[168:169]
	v_fma_f64 v[140:141], v[154:155], s[14:15], v[140:141]
	v_add_f64 v[160:161], v[162:163], v[172:173]
	v_fma_f64 v[134:135], v[154:155], s[18:19], v[134:135]
	v_fma_f64 v[162:163], v[154:155], s[0:1], v[46:47]
	v_add_f64 v[148:149], v[158:159], -v[148:149]
	v_add_f64 v[158:159], v[168:169], -v[180:181]
	v_fma_f64 v[46:47], v[154:155], s[10:11], v[46:47]
	v_add_f64 v[154:155], v[142:143], v[150:151]
	v_fma_f64 v[156:157], v[156:157], -0.5, v[142:143]
	v_add_f64 v[168:169], v[152:153], -v[89:90]
	v_fma_f64 v[140:141], v[160:161], s[16:17], v[140:141]
	v_fma_f64 v[162:163], v[146:147], s[14:15], v[162:163]
	;; [unrolled: 1-line block ×3, first 2 shown]
	v_add_f64 v[148:149], v[148:149], v[158:159]
	v_fma_f64 v[46:47], v[146:147], s[18:19], v[46:47]
	v_add_f64 v[146:147], v[154:155], v[166:167]
	v_add_f64 v[158:159], v[170:171], -v[164:165]
	v_fma_f64 v[154:155], v[168:169], s[0:1], v[156:157]
	v_add_f64 v[160:161], v[150:151], -v[166:167]
	v_add_f64 v[172:173], v[182:183], -v[174:175]
	v_add_f64 v[176:177], v[150:151], v[182:183]
	v_fma_f64 v[162:163], v[148:149], s[16:17], v[162:163]
	v_add_f64 v[178:179], v[170:171], v[164:165]
	v_fma_f64 v[46:47], v[148:149], s[16:17], v[46:47]
	;; [unrolled: 2-line block ×3, first 2 shown]
	v_add_f64 v[154:155], v[152:153], v[89:90]
	v_add_f64 v[160:161], v[160:161], v[172:173]
	v_fma_f64 v[142:143], v[176:177], -0.5, v[142:143]
	v_add_f64 v[176:177], v[150:151], -v[182:183]
	v_fma_f64 v[172:173], v[178:179], -0.5, v[144:145]
	v_add_f64 v[178:179], v[166:167], -v[174:175]
	v_add_f64 v[150:151], v[166:167], -v[150:151]
	;; [unrolled: 1-line block ×3, first 2 shown]
	v_fma_f64 v[154:155], v[154:155], -0.5, v[144:145]
	v_add_f64 v[186:187], v[89:90], -v[164:165]
	v_add_f64 v[190:191], v[170:171], -v[152:153]
	;; [unrolled: 1-line block ×3, first 2 shown]
	v_fma_f64 v[166:167], v[176:177], s[10:11], v[172:173]
	v_add_f64 v[136:137], v[136:137], v[180:181]
	v_fma_f64 v[156:157], v[168:169], s[10:11], v[156:157]
	v_add_f64 v[146:147], v[146:147], v[182:183]
	v_fma_f64 v[188:189], v[178:179], s[0:1], v[154:155]
	v_fma_f64 v[180:181], v[158:159], s[10:11], v[142:143]
	v_add_f64 v[174:175], v[174:175], -v[182:183]
	v_add_f64 v[144:145], v[144:145], v[152:153]
	v_fma_f64 v[152:153], v[178:179], s[14:15], v[166:167]
	v_fma_f64 v[154:155], v[178:179], s[10:11], v[154:155]
	;; [unrolled: 1-line block ×3, first 2 shown]
	v_add_f64 v[172:173], v[184:185], v[186:187]
	v_fma_f64 v[182:183], v[176:177], s[14:15], v[188:189]
	v_add_f64 v[184:185], v[190:191], v[192:193]
	v_fma_f64 v[156:157], v[158:159], s[14:15], v[156:157]
	v_fma_f64 v[142:143], v[158:159], s[0:1], v[142:143]
	v_add_f64 v[144:145], v[144:145], v[170:171]
	v_fma_f64 v[158:159], v[168:169], s[18:19], v[180:181]
	v_fma_f64 v[154:155], v[176:177], s[18:19], v[154:155]
	;; [unrolled: 1-line block ×4, first 2 shown]
	v_add_f64 v[150:151], v[150:151], v[174:175]
	v_fma_f64 v[170:171], v[184:185], s[16:17], v[182:183]
	v_fma_f64 v[148:149], v[160:161], s[16:17], v[148:149]
	;; [unrolled: 1-line block ×3, first 2 shown]
	v_add_f64 v[144:145], v[144:145], v[164:165]
	v_fma_f64 v[156:157], v[160:161], s[16:17], v[156:157]
	v_fma_f64 v[154:155], v[184:185], s[16:17], v[154:155]
	;; [unrolled: 1-line block ×3, first 2 shown]
	v_mul_f64 v[164:165], v[152:153], s[18:19]
	v_fma_f64 v[158:159], v[150:151], s[16:17], v[158:159]
	v_mul_f64 v[166:167], v[170:171], s[0:1]
	v_fma_f64 v[20:21], v[198:199], v[208:209], -v[20:21]
	v_fma_f64 v[142:143], v[150:151], s[16:17], v[142:143]
	v_add_f64 v[89:90], v[144:145], v[89:90]
	v_mul_f64 v[150:151], v[154:155], s[0:1]
	v_mul_f64 v[168:169], v[160:161], s[18:19]
	v_fma_f64 v[164:165], v[148:149], s[22:23], v[164:165]
	v_mul_f64 v[152:153], v[152:153], s[22:23]
	v_fma_f64 v[166:167], v[158:159], s[16:17], v[166:167]
	v_mul_f64 v[170:171], v[170:171], s[16:17]
	v_add_f64 v[176:177], v[26:27], v[32:33]
	v_add_f64 v[144:145], v[95:96], v[146:147]
	v_mul_f64 v[154:155], v[154:155], s[20:21]
	v_mul_f64 v[160:161], v[160:161], s[24:25]
	v_fma_f64 v[150:151], v[142:143], s[20:21], v[150:151]
	v_fma_f64 v[168:169], v[156:157], s[24:25], v[168:169]
	v_add_f64 v[172:173], v[97:98], v[164:165]
	v_fma_f64 v[148:149], v[148:149], s[14:15], v[152:153]
	v_add_f64 v[152:153], v[138:139], v[166:167]
	;; [unrolled: 2-line block ×3, first 2 shown]
	v_add_f64 v[95:96], v[95:96], -v[146:147]
	v_add_f64 v[97:98], v[97:98], -v[164:165]
	;; [unrolled: 1-line block ×3, first 2 shown]
	v_add_f64 v[146:147], v[40:41], v[28:29]
	v_fma_f64 v[164:165], v[176:177], -0.5, v[40:41]
	v_add_f64 v[166:167], v[20:21], -v[30:31]
	v_add_f64 v[136:137], v[136:137], -v[89:90]
	v_add_f64 v[89:90], v[28:29], v[34:35]
	v_fma_f64 v[142:143], v[142:143], s[10:11], v[154:155]
	v_fma_f64 v[154:155], v[156:157], s[14:15], v[160:161]
	v_add_f64 v[156:157], v[91:92], v[150:151]
	v_add_f64 v[160:161], v[93:94], v[168:169]
	;; [unrolled: 1-line block ×4, first 2 shown]
	v_add_f64 v[91:92], v[91:92], -v[150:151]
	v_add_f64 v[93:94], v[93:94], -v[168:169]
	;; [unrolled: 1-line block ×4, first 2 shown]
	v_add_f64 v[146:147], v[146:147], v[26:27]
	v_fma_f64 v[150:151], v[166:167], s[0:1], v[164:165]
	v_add_f64 v[158:159], v[24:25], -v[22:23]
	v_add_f64 v[162:163], v[28:29], -v[26:27]
	;; [unrolled: 1-line block ×3, first 2 shown]
	v_fma_f64 v[164:165], v[166:167], s[10:11], v[164:165]
	v_fma_f64 v[40:41], v[89:90], -0.5, v[40:41]
	v_add_f64 v[89:90], v[24:25], v[22:23]
	v_add_f64 v[180:181], v[46:47], v[142:143]
	v_add_f64 v[182:183], v[134:135], v[154:155]
	v_add_f64 v[142:143], v[46:47], -v[142:143]
	v_add_f64 v[134:135], v[134:135], -v[154:155]
	v_add_f64 v[46:47], v[146:147], v[32:33]
	v_fma_f64 v[146:147], v[158:159], s[18:19], v[150:151]
	v_add_f64 v[150:151], v[162:163], v[168:169]
	v_fma_f64 v[154:155], v[158:159], s[14:15], v[164:165]
	v_fma_f64 v[162:163], v[158:159], s[10:11], v[40:41]
	v_add_f64 v[164:165], v[26:27], -v[28:29]
	v_add_f64 v[168:169], v[32:33], -v[34:35]
	v_add_f64 v[176:177], v[42:43], v[20:21]
	v_fma_f64 v[89:90], v[89:90], -0.5, v[42:43]
	v_add_f64 v[28:29], v[28:29], -v[34:35]
	v_add_f64 v[34:35], v[46:47], v[34:35]
	v_fma_f64 v[46:47], v[150:151], s[16:17], v[146:147]
	v_fma_f64 v[146:147], v[150:151], s[16:17], v[154:155]
	;; [unrolled: 1-line block ×3, first 2 shown]
	v_add_f64 v[154:155], v[164:165], v[168:169]
	v_fma_f64 v[40:41], v[158:159], s[0:1], v[40:41]
	v_add_f64 v[158:159], v[176:177], v[24:25]
	v_fma_f64 v[162:163], v[28:29], s[10:11], v[89:90]
	v_add_f64 v[26:27], v[26:27], -v[32:33]
	v_add_f64 v[32:33], v[20:21], -v[24:25]
	;; [unrolled: 1-line block ×3, first 2 shown]
	v_fma_f64 v[89:90], v[28:29], s[0:1], v[89:90]
	v_add_f64 v[168:169], v[20:21], v[30:31]
	v_fma_f64 v[6:7], v[218:219], v[224:225], -v[6:7]
	v_fma_f64 v[40:41], v[166:167], s[14:15], v[40:41]
	v_add_f64 v[158:159], v[158:159], v[22:23]
	v_add_f64 v[166:167], v[12:13], v[14:15]
	v_fma_f64 v[162:163], v[26:27], s[14:15], v[162:163]
	v_add_f64 v[32:33], v[32:33], v[164:165]
	v_fma_f64 v[89:90], v[26:27], s[18:19], v[89:90]
	v_fma_f64 v[42:43], v[168:169], -0.5, v[42:43]
	v_fma_f64 v[150:151], v[154:155], s[16:17], v[150:151]
	v_fma_f64 v[40:41], v[154:155], s[16:17], v[40:41]
	v_add_f64 v[154:155], v[158:159], v[30:31]
	v_add_f64 v[158:159], v[18:19], v[10:11]
	v_fma_f64 v[164:165], v[166:167], -0.5, v[18:19]
	v_add_f64 v[166:167], v[6:7], -v[2:3]
	v_fma_f64 v[162:163], v[32:33], s[16:17], v[162:163]
	v_fma_f64 v[32:33], v[32:33], s[16:17], v[89:90]
	;; [unrolled: 1-line block ×3, first 2 shown]
	v_add_f64 v[20:21], v[24:25], -v[20:21]
	v_add_f64 v[22:23], v[22:23], -v[30:31]
	v_fma_f64 v[24:25], v[26:27], s[10:11], v[42:43]
	v_add_f64 v[168:169], v[10:11], -v[12:13]
	v_add_f64 v[176:177], v[4:5], -v[14:15]
	v_add_f64 v[26:27], v[158:159], v[12:13]
	v_fma_f64 v[30:31], v[166:167], s[0:1], v[164:165]
	v_add_f64 v[42:43], v[16:17], -v[8:9]
	v_add_f64 v[158:159], v[10:11], v[4:5]
	v_add_f64 v[184:185], v[16:17], v[8:9]
	v_fma_f64 v[89:90], v[28:29], s[14:15], v[89:90]
	v_add_f64 v[20:21], v[20:21], v[22:23]
	v_fma_f64 v[22:23], v[28:29], s[18:19], v[24:25]
	v_add_f64 v[28:29], v[168:169], v[176:177]
	v_add_f64 v[168:169], v[6:7], v[2:3]
	;; [unrolled: 1-line block ×3, first 2 shown]
	v_fma_f64 v[18:19], v[158:159], -0.5, v[18:19]
	v_fma_f64 v[26:27], v[42:43], s[18:19], v[30:31]
	v_fma_f64 v[30:31], v[184:185], -0.5, v[0:1]
	v_add_f64 v[158:159], v[10:11], -v[4:5]
	v_add_f64 v[184:185], v[12:13], -v[14:15]
	v_fma_f64 v[89:90], v[20:21], s[16:17], v[89:90]
	v_fma_f64 v[168:169], v[168:169], -0.5, v[0:1]
	v_fma_f64 v[20:21], v[20:21], s[16:17], v[22:23]
	v_add_f64 v[22:23], v[24:25], v[4:5]
	v_fma_f64 v[24:25], v[28:29], s[16:17], v[26:27]
	v_add_f64 v[10:11], v[12:13], -v[10:11]
	v_fma_f64 v[26:27], v[158:159], s[10:11], v[30:31]
	v_add_f64 v[12:13], v[6:7], -v[16:17]
	v_add_f64 v[186:187], v[2:3], -v[8:9]
	v_add_f64 v[0:1], v[0:1], v[6:7]
	v_fma_f64 v[188:189], v[184:185], s[0:1], v[168:169]
	v_add_f64 v[6:7], v[16:17], -v[6:7]
	v_add_f64 v[190:191], v[8:9], -v[2:3]
	v_fma_f64 v[168:169], v[184:185], s[10:11], v[168:169]
	v_fma_f64 v[30:31], v[158:159], s[0:1], v[30:31]
	;; [unrolled: 1-line block ×5, first 2 shown]
	v_add_f64 v[12:13], v[12:13], v[186:187]
	v_add_f64 v[4:5], v[14:15], -v[4:5]
	v_fma_f64 v[14:15], v[42:43], s[0:1], v[18:19]
	v_add_f64 v[0:1], v[0:1], v[16:17]
	v_fma_f64 v[16:17], v[158:159], s[14:15], v[188:189]
	v_add_f64 v[6:7], v[6:7], v[190:191]
	v_fma_f64 v[18:19], v[158:159], s[18:19], v[168:169]
	v_fma_f64 v[30:31], v[184:185], s[18:19], v[30:31]
	;; [unrolled: 1-line block ×5, first 2 shown]
	v_add_f64 v[4:5], v[10:11], v[4:5]
	v_fma_f64 v[10:11], v[166:167], s[14:15], v[14:15]
	v_fma_f64 v[14:15], v[6:7], s[16:17], v[16:17]
	;; [unrolled: 1-line block ×4, first 2 shown]
	v_add_f64 v[0:1], v[0:1], v[8:9]
	v_fma_f64 v[8:9], v[28:29], s[16:17], v[164:165]
	v_mul_f64 v[16:17], v[26:27], s[18:19]
	v_fma_f64 v[18:19], v[4:5], s[16:17], v[176:177]
	v_fma_f64 v[4:5], v[4:5], s[16:17], v[10:11]
	v_mul_f64 v[10:11], v[14:15], s[0:1]
	v_mul_f64 v[28:29], v[6:7], s[0:1]
	;; [unrolled: 1-line block ×5, first 2 shown]
	v_fma_f64 v[16:17], v[24:25], s[22:23], v[16:17]
	v_mul_f64 v[6:7], v[6:7], s[20:21]
	v_mul_f64 v[12:13], v[12:13], s[24:25]
	v_fma_f64 v[10:11], v[18:19], s[16:17], v[10:11]
	v_fma_f64 v[28:29], v[4:5], s[20:21], v[28:29]
	;; [unrolled: 1-line block ×3, first 2 shown]
	v_add_f64 v[0:1], v[0:1], v[2:3]
	v_add_f64 v[2:3], v[34:35], v[22:23]
	;; [unrolled: 1-line block ×3, first 2 shown]
	v_fma_f64 v[24:25], v[24:25], s[14:15], v[26:27]
	v_fma_f64 v[14:15], v[18:19], s[10:11], v[14:15]
	;; [unrolled: 1-line block ×4, first 2 shown]
	v_add_f64 v[12:13], v[40:41], v[28:29]
	v_add_f64 v[26:27], v[40:41], -v[28:29]
	v_add_f64 v[28:29], v[146:147], -v[30:31]
	v_add_f64 v[8:9], v[150:151], v[10:11]
	v_add_f64 v[18:19], v[146:147], v[30:31]
	v_add_f64 v[22:23], v[34:35], -v[22:23]
	v_add_f64 v[158:159], v[154:155], v[0:1]
	v_add_f64 v[16:17], v[46:47], -v[16:17]
	v_add_f64 v[10:11], v[150:151], -v[10:11]
	;; [unrolled: 1-line block ×3, first 2 shown]
	v_mul_u32_u24_e32 v0, 0x960, v83
	v_lshlrev_b32_sdwa v1, v82, v84 dst_sel:DWORD dst_unused:UNUSED_PAD src0_sel:DWORD src1_sel:BYTE_0
	v_add3_u32 v83, 0, v0, v1
	v_mul_u32_u24_e32 v0, 0x960, v85
	v_lshlrev_b32_sdwa v1, v82, v86 dst_sel:DWORD dst_unused:UNUSED_PAD src0_sel:DWORD src1_sel:BYTE_0
	v_add3_u32 v82, 0, v0, v1
	v_mul_u32_u24_e32 v0, 0x960, v87
	v_lshlrev_b32_e32 v1, 3, v88
	v_add3_u32 v85, 0, v0, v1
	s_barrier
	ds_write2_b64 v83, v[36:37], v[38:39] offset1:30
	ds_write2_b64 v83, v[48:49], v[54:55] offset0:60 offset1:90
	ds_write2_b64 v83, v[56:57], v[72:73] offset0:120 offset1:150
	ds_write2_b64 v83, v[74:75], v[76:77] offset0:180 offset1:210
	v_add_u32_e32 v73, 0x400, v83
	v_add_u32_e32 v84, 0x400, v82
	;; [unrolled: 1-line block ×3, first 2 shown]
	v_lshl_add_u32 v87, v125, 3, 0
	v_add_f64 v[164:165], v[162:163], v[24:25]
	v_add_f64 v[166:167], v[89:90], v[14:15]
	;; [unrolled: 1-line block ×4, first 2 shown]
	v_add_f64 v[150:151], v[162:163], -v[24:25]
	v_add_f64 v[154:155], v[89:90], -v[14:15]
	;; [unrolled: 1-line block ×4, first 2 shown]
	ds_write2_b64 v73, v[78:79], v[80:81] offset0:112 offset1:142
	ds_write2_b64 v82, v[144:145], v[172:173] offset1:30
	ds_write2_b64 v82, v[152:153], v[156:157] offset0:60 offset1:90
	ds_write2_b64 v82, v[160:161], v[95:96] offset0:120 offset1:150
	;; [unrolled: 1-line block ×4, first 2 shown]
	ds_write2_b64 v85, v[2:3], v[42:43] offset1:30
	ds_write2_b64 v85, v[8:9], v[12:13] offset0:60 offset1:90
	ds_write2_b64 v85, v[18:19], v[22:23] offset0:120 offset1:150
	;; [unrolled: 1-line block ×4, first 2 shown]
	s_waitcnt lgkmcnt(0)
	s_barrier
	ds_read2_b64 v[74:77], v103 offset0:132 offset1:222
	ds_read2_b64 v[78:81], v102 offset0:8 offset1:98
	;; [unrolled: 1-line block ×4, first 2 shown]
	v_lshl_add_u32 v72, v124, 3, 0
	ds_read_b64 v[56:57], v100
	ds_read_b64 v[54:55], v104
	;; [unrolled: 1-line block ×4, first 2 shown]
	ds_read2_b64 v[20:23], v109 offset0:108 offset1:198
	ds_read2_b64 v[16:19], v110 offset0:112 offset1:202
	ds_read2_b64 v[12:15], v112 offset0:160 offset1:250
	ds_read2_b64 v[8:11], v111 offset0:36 offset1:126
	v_lshl_add_u32 v88, v127, 3, 0
	ds_read_b64 v[40:41], v87
	ds_read_b64 v[36:37], v88
	v_lshl_add_u32 v89, v128, 3, 0
	ds_read_b64 v[46:47], v132
	ds_read_b64 v[34:35], v89
	ds_read2_b64 v[4:7], v117 offset0:84 offset1:174
	ds_read2_b64 v[0:3], v118 offset0:88 offset1:178
	ds_read_b64 v[38:39], v119
	ds_read_b64 v[32:33], v133
	s_waitcnt lgkmcnt(0)
	s_barrier
	ds_write2_b64 v83, v[50:51], v[52:53] offset1:30
	ds_write2_b64 v83, v[58:59], v[60:61] offset0:60 offset1:90
	ds_write2_b64 v83, v[62:63], v[64:65] offset0:120 offset1:150
	ds_write2_b64 v83, v[66:67], v[68:69] offset0:180 offset1:210
	ds_write2_b64 v73, v[44:45], v[70:71] offset0:112 offset1:142
	ds_write2_b64 v82, v[170:171], v[174:175] offset1:30
	ds_write2_b64 v82, v[178:179], v[180:181] offset0:60 offset1:90
	ds_write2_b64 v82, v[182:183], v[136:137] offset0:120 offset1:150
	ds_write2_b64 v82, v[140:141], v[148:149] offset0:180 offset1:210
	ds_write2_b64 v84, v[142:143], v[134:135] offset0:112 offset1:142
	;; [unrolled: 5-line block ×3, first 2 shown]
	v_lshlrev_b32_e32 v60, 1, v122
	v_mov_b32_e32 v61, 0
	v_lshlrev_b64 v[44:45], 4, v[60:61]
	v_mov_b32_e32 v230, s9
	v_add_co_u32_e64 v73, s[0:1], s8, v44
	v_addc_co_u32_e64 v84, s[0:1], v230, v45, s[0:1]
	v_add_co_u32_e64 v44, s[0:1], s26, v73
	v_addc_co_u32_e64 v45, s[0:1], 0, v84, s[0:1]
	s_movk_i32 s11, 0x1290
	v_add_co_u32_e64 v66, s[0:1], s11, v73
	v_addc_co_u32_e64 v67, s[0:1], 0, v84, s[0:1]
	s_waitcnt lgkmcnt(0)
	s_barrier
	global_load_dwordx4 v[90:93], v[44:45], off offset:656
	ds_read2_b64 v[94:97], v103 offset0:132 offset1:222
	ds_read2_b64 v[134:137], v102 offset0:8 offset1:98
	;; [unrolled: 1-line block ×4, first 2 shown]
	ds_read_b64 v[64:65], v100
	ds_read_b64 v[62:63], v104
	ds_read_b64 v[58:59], v107
	ds_read_b64 v[52:53], v72
	ds_read2_b64 v[146:149], v109 offset0:108 offset1:198
	ds_read2_b64 v[150:153], v110 offset0:112 offset1:202
	;; [unrolled: 1-line block ×4, first 2 shown]
	ds_read_b64 v[50:51], v87
	ds_read_b64 v[44:45], v88
	global_load_dwordx4 v[162:165], v[66:67], off offset:16
	v_lshlrev_b32_e32 v66, 1, v130
	v_mov_b32_e32 v67, v61
	v_lshlrev_b64 v[66:67], 4, v[66:67]
	s_movk_i32 s10, 0x3000
	v_add_co_u32_e64 v85, s[0:1], s8, v66
	v_addc_co_u32_e64 v86, s[0:1], v230, v67, s[0:1]
	v_add_co_u32_e64 v66, s[0:1], s11, v85
	v_addc_co_u32_e64 v67, s[0:1], 0, v86, s[0:1]
	;; [unrolled: 2-line block ×3, first 2 shown]
	global_load_dwordx4 v[166:169], v[68:69], off offset:656
	global_load_dwordx4 v[170:173], v[66:67], off offset:16
	v_lshlrev_b32_e32 v66, 1, v131
	v_mov_b32_e32 v67, v61
	v_lshlrev_b64 v[66:67], 4, v[66:67]
	v_add_co_u32_e64 v66, s[0:1], s8, v66
	v_addc_co_u32_e64 v67, s[0:1], v230, v67, s[0:1]
	v_add_co_u32_e64 v68, s[0:1], s11, v66
	v_addc_co_u32_e64 v69, s[0:1], 0, v67, s[0:1]
	;; [unrolled: 2-line block ×3, first 2 shown]
	global_load_dwordx4 v[174:177], v[82:83], off offset:656
	global_load_dwordx4 v[178:181], v[68:69], off offset:16
	v_subrev_u32_e32 v68, 30, v122
	v_cmp_gt_u32_e64 s[0:1], 30, v122
	v_cndmask_b32_e64 v68, v68, v123, s[0:1]
	v_lshlrev_b32_e32 v82, 1, v68
	v_mov_b32_e32 v83, v61
	v_lshlrev_b64 v[82:83], 4, v[82:83]
	v_add_co_u32_e64 v69, s[0:1], s8, v82
	v_addc_co_u32_e64 v99, s[0:1], v230, v83, s[0:1]
	v_add_co_u32_e64 v82, s[0:1], s11, v69
	v_addc_co_u32_e64 v83, s[0:1], 0, v99, s[0:1]
	;; [unrolled: 2-line block ×3, first 2 shown]
	global_load_dwordx4 v[182:185], v[98:99], off offset:656
	global_load_dwordx4 v[186:189], v[82:83], off offset:16
	v_add_u32_e32 v82, 0x78, v60
	v_mov_b32_e32 v83, v61
	v_lshlrev_b64 v[82:83], 4, v[82:83]
	v_add_u32_e32 v60, 0x12c, v60
	v_add_co_u32_e64 v69, s[0:1], s8, v82
	v_addc_co_u32_e64 v99, s[0:1], v230, v83, s[0:1]
	v_add_co_u32_e64 v82, s[0:1], s11, v69
	v_addc_co_u32_e64 v83, s[0:1], 0, v99, s[0:1]
	;; [unrolled: 2-line block ×3, first 2 shown]
	global_load_dwordx4 v[190:193], v[98:99], off offset:656
	global_load_dwordx4 v[194:197], v[82:83], off offset:16
	v_lshlrev_b64 v[82:83], 4, v[60:61]
	v_add_co_u32_e64 v60, s[0:1], s8, v82
	v_addc_co_u32_e64 v69, s[0:1], v230, v83, s[0:1]
	v_add_co_u32_e64 v82, s[0:1], s11, v60
	v_addc_co_u32_e64 v83, s[0:1], 0, v69, s[0:1]
	v_add_co_u32_e64 v98, s[0:1], s26, v60
	v_lshrrev_b16_e32 v60, 2, v126
	v_mul_u32_u24_e32 v60, 0x6d3b, v60
	v_lshrrev_b32_e32 v60, 21, v60
	v_addc_co_u32_e64 v99, s[0:1], 0, v69, s[0:1]
	v_mul_lo_u16_e32 v69, 0x12c, v60
	v_sub_u16_e32 v69, v126, v69
	global_load_dwordx4 v[198:201], v[98:99], off offset:656
	global_load_dwordx4 v[202:205], v[82:83], off offset:16
	v_lshlrev_b32_e32 v82, 5, v69
	v_add_co_u32_e64 v98, s[0:1], s8, v82
	v_addc_co_u32_e64 v99, s[0:1], 0, v230, s[0:1]
	v_add_co_u32_e64 v82, s[0:1], s11, v98
	v_addc_co_u32_e64 v83, s[0:1], 0, v99, s[0:1]
	v_add_co_u32_e64 v98, s[0:1], s26, v98
	v_addc_co_u32_e64 v99, s[0:1], 0, v99, s[0:1]
	global_load_dwordx4 v[206:209], v[98:99], off offset:656
	global_load_dwordx4 v[210:213], v[82:83], off offset:16
	v_lshrrev_b16_e32 v82, 2, v127
	v_mul_u32_u24_e32 v82, 0x6d3b, v82
	v_lshrrev_b32_e32 v82, 21, v82
	v_mul_lo_u16_e32 v82, 0x12c, v82
	v_sub_u16_e32 v246, v127, v82
	v_lshlrev_b32_e32 v82, 5, v246
	v_add_co_u32_e64 v98, s[0:1], s8, v82
	v_addc_co_u32_e64 v99, s[0:1], 0, v230, s[0:1]
	v_add_co_u32_e64 v82, s[0:1], s11, v98
	v_addc_co_u32_e64 v83, s[0:1], 0, v99, s[0:1]
	v_add_co_u32_e64 v98, s[0:1], s26, v98
	v_addc_co_u32_e64 v99, s[0:1], 0, v99, s[0:1]
	global_load_dwordx4 v[214:217], v[98:99], off offset:656
	global_load_dwordx4 v[218:221], v[82:83], off offset:16
	v_lshrrev_b16_e32 v82, 2, v128
	v_mul_u32_u24_e32 v82, 0x6d3b, v82
	v_lshrrev_b32_e32 v82, 21, v82
	v_mul_lo_u16_e32 v82, 0x12c, v82
	v_sub_u16_e32 v247, v128, v82
	;; [unrolled: 14-line block ×3, first 2 shown]
	v_lshlrev_b32_e32 v82, 5, v248
	v_add_co_u32_e64 v98, s[0:1], s8, v82
	v_addc_co_u32_e64 v99, s[0:1], 0, v230, s[0:1]
	v_add_co_u32_e64 v82, s[0:1], s26, v98
	v_addc_co_u32_e64 v83, s[0:1], 0, v99, s[0:1]
	global_load_dwordx4 v[230:233], v[82:83], off offset:656
	s_waitcnt vmcnt(18) lgkmcnt(13)
	v_mul_f64 v[70:71], v[94:95], v[92:93]
	v_mul_f64 v[82:83], v[74:75], v[92:93]
	v_add_co_u32_e64 v92, s[0:1], s11, v98
	v_addc_co_u32_e64 v93, s[0:1], 0, v99, s[0:1]
	global_load_dwordx4 v[234:237], v[92:93], off offset:16
	s_waitcnt vmcnt(17)
	v_mul_f64 v[130:131], v[96:97], v[168:169]
	v_mul_f64 v[168:169], v[76:77], v[168:169]
	v_fma_f64 v[70:71], v[74:75], v[90:91], v[70:71]
	v_fma_f64 v[74:75], v[94:95], v[90:91], -v[82:83]
	s_waitcnt lgkmcnt(12)
	v_mul_f64 v[82:83], v[134:135], v[164:165]
	v_mul_f64 v[90:91], v[78:79], v[164:165]
	ds_read_b64 v[92:93], v132
	ds_read_b64 v[98:99], v89
	ds_read2_b64 v[238:241], v117 offset0:84 offset1:174
	ds_read2_b64 v[242:245], v118 offset0:88 offset1:178
	v_fma_f64 v[76:77], v[76:77], v[166:167], v[130:131]
	v_fma_f64 v[94:95], v[96:97], v[166:167], -v[168:169]
	s_waitcnt vmcnt(16)
	v_mul_f64 v[96:97], v[136:137], v[172:173]
	v_mul_f64 v[166:167], v[80:81], v[172:173]
	v_fma_f64 v[78:79], v[78:79], v[162:163], v[82:83]
	s_waitcnt vmcnt(15)
	v_mul_f64 v[82:83], v[28:29], v[176:177]
	s_waitcnt lgkmcnt(14)
	v_mul_f64 v[168:169], v[138:139], v[176:177]
	v_fma_f64 v[90:91], v[134:135], v[162:163], -v[90:91]
	s_waitcnt vmcnt(14)
	v_mul_f64 v[134:135], v[142:143], v[180:181]
	s_waitcnt vmcnt(13)
	v_mul_f64 v[162:163], v[140:141], v[184:185]
	v_fma_f64 v[80:81], v[80:81], v[170:171], v[96:97]
	v_mul_f64 v[96:97], v[24:25], v[180:181]
	v_fma_f64 v[136:137], v[136:137], v[170:171], -v[166:167]
	v_fma_f64 v[82:83], v[138:139], v[174:175], -v[82:83]
	v_mul_f64 v[138:139], v[30:31], v[184:185]
	s_waitcnt vmcnt(11) lgkmcnt(9)
	v_mul_f64 v[166:167], v[146:147], v[192:193]
	v_fma_f64 v[24:25], v[24:25], v[178:179], v[134:135]
	v_mul_f64 v[134:135], v[144:145], v[188:189]
	v_fma_f64 v[30:31], v[30:31], v[182:183], v[162:163]
	v_fma_f64 v[96:97], v[142:143], v[178:179], -v[96:97]
	v_mul_f64 v[142:143], v[26:27], v[188:189]
	v_mul_f64 v[162:163], v[20:21], v[192:193]
	v_fma_f64 v[138:139], v[140:141], v[182:183], -v[138:139]
	s_waitcnt vmcnt(10) lgkmcnt(8)
	v_mul_f64 v[140:141], v[150:151], v[196:197]
	v_fma_f64 v[20:21], v[20:21], v[190:191], v[166:167]
	v_fma_f64 v[26:27], v[26:27], v[186:187], v[134:135]
	v_mul_f64 v[134:135], v[16:17], v[196:197]
	s_waitcnt vmcnt(7) lgkmcnt(7)
	v_mul_f64 v[166:167], v[154:155], v[208:209]
	v_fma_f64 v[142:143], v[144:145], v[186:187], -v[142:143]
	v_mul_f64 v[144:145], v[148:149], v[200:201]
	v_fma_f64 v[146:147], v[146:147], v[190:191], -v[162:163]
	v_mul_f64 v[162:163], v[22:23], v[200:201]
	v_fma_f64 v[16:17], v[16:17], v[194:195], v[140:141]
	v_mul_f64 v[140:141], v[152:153], v[204:205]
	v_fma_f64 v[134:135], v[150:151], v[194:195], -v[134:135]
	v_mul_f64 v[150:151], v[18:19], v[204:205]
	v_add_f64 v[172:173], v[74:75], v[90:91]
	v_fma_f64 v[22:23], v[22:23], v[198:199], v[144:145]
	v_mul_f64 v[144:145], v[12:13], v[208:209]
	v_fma_f64 v[148:149], v[148:149], v[198:199], -v[162:163]
	s_waitcnt vmcnt(6) lgkmcnt(6)
	v_mul_f64 v[162:163], v[158:159], v[212:213]
	v_fma_f64 v[18:19], v[18:19], v[202:203], v[140:141]
	v_mul_f64 v[140:141], v[8:9], v[212:213]
	v_fma_f64 v[150:151], v[152:153], v[202:203], -v[150:151]
	s_waitcnt vmcnt(5)
	v_mul_f64 v[152:153], v[156:157], v[216:217]
	v_fma_f64 v[12:13], v[12:13], v[206:207], v[166:167]
	v_fma_f64 v[144:145], v[154:155], v[206:207], -v[144:145]
	v_mul_f64 v[154:155], v[14:15], v[216:217]
	v_fma_f64 v[8:9], v[8:9], v[210:211], v[162:163]
	s_waitcnt vmcnt(4)
	v_mul_f64 v[162:163], v[160:161], v[220:221]
	v_fma_f64 v[140:141], v[158:159], v[210:211], -v[140:141]
	v_mul_f64 v[158:159], v[10:11], v[220:221]
	s_waitcnt vmcnt(3) lgkmcnt(1)
	v_mul_f64 v[166:167], v[238:239], v[224:225]
	v_fma_f64 v[28:29], v[28:29], v[174:175], v[168:169]
	v_fma_f64 v[14:15], v[14:15], v[214:215], v[152:153]
	v_fma_f64 v[154:155], v[156:157], v[214:215], -v[154:155]
	s_waitcnt vmcnt(2) lgkmcnt(0)
	v_mul_f64 v[156:157], v[242:243], v[228:229]
	v_fma_f64 v[10:11], v[10:11], v[218:219], v[162:163]
	v_mul_f64 v[162:163], v[0:1], v[228:229]
	v_fma_f64 v[158:159], v[160:161], v[218:219], -v[158:159]
	v_mul_f64 v[152:153], v[4:5], v[224:225]
	v_fma_f64 v[4:5], v[4:5], v[222:223], v[166:167]
	ds_read_b64 v[130:131], v119
	ds_read_b64 v[164:165], v133
	v_cmp_lt_u32_e64 s[0:1], 29, v122
	s_waitcnt vmcnt(1)
	v_mul_f64 v[160:161], v[240:241], v[232:233]
	v_fma_f64 v[0:1], v[0:1], v[226:227], v[156:157]
	v_add_f64 v[156:157], v[70:71], v[78:79]
	v_mul_f64 v[166:167], v[6:7], v[232:233]
	v_fma_f64 v[152:153], v[238:239], v[222:223], -v[152:153]
	v_fma_f64 v[162:163], v[242:243], v[226:227], -v[162:163]
	s_waitcnt vmcnt(0) lgkmcnt(0)
	v_mul_f64 v[168:169], v[244:245], v[236:237]
	v_mul_f64 v[170:171], v[2:3], v[236:237]
	v_fma_f64 v[6:7], v[6:7], v[230:231], v[160:161]
	v_add_f64 v[160:161], v[56:57], v[70:71]
	v_fma_f64 v[56:57], v[156:157], -0.5, v[56:57]
	v_add_f64 v[156:157], v[74:75], -v[90:91]
	v_add_f64 v[74:75], v[64:65], v[74:75]
	v_fma_f64 v[64:65], v[172:173], -0.5, v[64:65]
	v_add_f64 v[70:71], v[70:71], -v[78:79]
	v_fma_f64 v[2:3], v[2:3], v[234:235], v[168:169]
	v_fma_f64 v[168:169], v[244:245], v[234:235], -v[170:171]
	v_add_f64 v[160:161], v[160:161], v[78:79]
	v_add_f64 v[170:171], v[76:77], v[80:81]
	v_fma_f64 v[78:79], v[156:157], s[4:5], v[56:57]
	v_fma_f64 v[56:57], v[156:157], s[6:7], v[56:57]
	v_add_f64 v[156:157], v[54:55], v[76:77]
	v_add_f64 v[90:91], v[74:75], v[90:91]
	;; [unrolled: 1-line block ×3, first 2 shown]
	v_fma_f64 v[172:173], v[70:71], s[6:7], v[64:65]
	v_fma_f64 v[64:65], v[70:71], s[4:5], v[64:65]
	v_add_f64 v[70:71], v[62:63], v[94:95]
	v_fma_f64 v[54:55], v[170:171], -0.5, v[54:55]
	v_add_f64 v[170:171], v[94:95], -v[136:137]
	v_add_f64 v[94:95], v[156:157], v[80:81]
	v_add_f64 v[156:157], v[28:29], v[24:25]
	v_fma_f64 v[62:63], v[74:75], -0.5, v[62:63]
	v_add_f64 v[74:75], v[76:77], -v[80:81]
	v_add_f64 v[80:81], v[48:49], v[28:29]
	v_add_f64 v[136:137], v[70:71], v[136:137]
	;; [unrolled: 1-line block ×3, first 2 shown]
	v_fma_f64 v[76:77], v[170:171], s[4:5], v[54:55]
	v_fma_f64 v[54:55], v[170:171], s[6:7], v[54:55]
	v_fma_f64 v[48:49], v[156:157], -0.5, v[48:49]
	v_add_f64 v[156:157], v[82:83], -v[96:97]
	v_fma_f64 v[170:171], v[74:75], s[6:7], v[62:63]
	v_fma_f64 v[174:175], v[74:75], s[4:5], v[62:63]
	v_add_f64 v[62:63], v[58:59], v[82:83]
	v_add_f64 v[74:75], v[80:81], v[24:25]
	;; [unrolled: 1-line block ×3, first 2 shown]
	v_fma_f64 v[58:59], v[70:71], -0.5, v[58:59]
	v_add_f64 v[24:25], v[28:29], -v[24:25]
	v_fma_f64 v[28:29], v[156:157], s[4:5], v[48:49]
	v_fma_f64 v[48:49], v[156:157], s[6:7], v[48:49]
	v_add_f64 v[70:71], v[46:47], v[30:31]
	v_add_f64 v[96:97], v[62:63], v[96:97]
	;; [unrolled: 1-line block ×3, first 2 shown]
	v_fma_f64 v[46:47], v[80:81], -0.5, v[46:47]
	v_add_f64 v[80:81], v[138:139], -v[142:143]
	v_fma_f64 v[156:157], v[24:25], s[6:7], v[58:59]
	v_fma_f64 v[176:177], v[24:25], s[4:5], v[58:59]
	v_add_f64 v[24:25], v[92:93], v[138:139]
	v_add_f64 v[58:59], v[70:71], v[26:27]
	v_add_f64 v[26:27], v[30:31], -v[26:27]
	v_fma_f64 v[62:63], v[62:63], -0.5, v[92:93]
	v_add_f64 v[70:71], v[20:21], v[16:17]
	v_fma_f64 v[30:31], v[80:81], s[4:5], v[46:47]
	v_fma_f64 v[46:47], v[80:81], s[6:7], v[46:47]
	v_add_f64 v[80:81], v[42:43], v[20:21]
	v_add_f64 v[92:93], v[24:25], v[142:143]
	;; [unrolled: 1-line block ×4, first 2 shown]
	v_fma_f64 v[138:139], v[26:27], s[6:7], v[62:63]
	v_fma_f64 v[142:143], v[26:27], s[4:5], v[62:63]
	v_add_f64 v[26:27], v[52:53], v[146:147]
	v_fma_f64 v[42:43], v[70:71], -0.5, v[42:43]
	v_add_f64 v[62:63], v[80:81], v[16:17]
	v_add_f64 v[16:17], v[20:21], -v[16:17]
	v_fma_f64 v[24:25], v[24:25], -0.5, v[52:53]
	v_add_f64 v[70:71], v[146:147], -v[134:135]
	v_add_f64 v[80:81], v[22:23], v[18:19]
	v_add_f64 v[52:53], v[40:41], v[22:23]
	;; [unrolled: 1-line block ×4, first 2 shown]
	v_fma_f64 v[166:167], v[240:241], v[230:231], -v[166:167]
	s_barrier
	v_fma_f64 v[146:147], v[16:17], s[6:7], v[24:25]
	v_fma_f64 v[16:17], v[16:17], s[4:5], v[24:25]
	v_add_f64 v[24:25], v[50:51], v[148:149]
	v_fma_f64 v[20:21], v[70:71], s[4:5], v[42:43]
	v_fma_f64 v[42:43], v[70:71], s[6:7], v[42:43]
	v_fma_f64 v[40:41], v[80:81], -0.5, v[40:41]
	v_add_f64 v[70:71], v[148:149], -v[150:151]
	v_add_f64 v[80:81], v[12:13], v[8:9]
	v_add_f64 v[52:53], v[52:53], v[18:19]
	v_fma_f64 v[26:27], v[26:27], -0.5, v[50:51]
	v_add_f64 v[18:19], v[22:23], -v[18:19]
	v_add_f64 v[50:51], v[38:39], v[12:13]
	v_add_f64 v[148:149], v[24:25], v[150:151]
	;; [unrolled: 1-line block ×3, first 2 shown]
	v_fma_f64 v[22:23], v[70:71], s[4:5], v[40:41]
	v_fma_f64 v[40:41], v[70:71], s[6:7], v[40:41]
	v_fma_f64 v[38:39], v[80:81], -0.5, v[38:39]
	v_add_f64 v[70:71], v[144:145], -v[140:141]
	v_add_f64 v[80:81], v[130:131], v[144:145]
	v_fma_f64 v[150:151], v[18:19], s[6:7], v[26:27]
	v_fma_f64 v[18:19], v[18:19], s[4:5], v[26:27]
	v_add_f64 v[26:27], v[50:51], v[8:9]
	v_fma_f64 v[24:25], v[24:25], -0.5, v[130:131]
	v_add_f64 v[8:9], v[12:13], -v[8:9]
	v_add_f64 v[50:51], v[14:15], v[10:11]
	v_fma_f64 v[12:13], v[70:71], s[4:5], v[38:39]
	v_fma_f64 v[38:39], v[70:71], s[6:7], v[38:39]
	v_add_f64 v[130:131], v[80:81], v[140:141]
	v_add_f64 v[70:71], v[154:155], v[158:159]
	;; [unrolled: 1-line block ×3, first 2 shown]
	v_add_f64 v[14:15], v[14:15], -v[10:11]
	v_fma_f64 v[140:141], v[8:9], s[6:7], v[24:25]
	v_fma_f64 v[144:145], v[8:9], s[4:5], v[24:25]
	v_add_f64 v[8:9], v[44:45], v[154:155]
	v_fma_f64 v[36:37], v[50:51], -0.5, v[36:37]
	v_add_f64 v[50:51], v[154:155], -v[158:159]
	v_fma_f64 v[24:25], v[70:71], -0.5, v[44:45]
	v_add_f64 v[10:11], v[80:81], v[10:11]
	v_add_f64 v[70:71], v[34:35], v[4:5]
	v_fma_f64 v[34:35], v[82:83], -0.5, v[34:35]
	v_add_f64 v[80:81], v[152:153], -v[162:163]
	v_add_f64 v[154:155], v[8:9], v[158:159]
	v_add_f64 v[8:9], v[152:153], v[162:163]
	v_fma_f64 v[44:45], v[50:51], s[4:5], v[36:37]
	v_fma_f64 v[36:37], v[50:51], s[6:7], v[36:37]
	v_add_f64 v[50:51], v[6:7], v[2:3]
	v_fma_f64 v[158:159], v[14:15], s[6:7], v[24:25]
	v_fma_f64 v[14:15], v[14:15], s[4:5], v[24:25]
	;; [unrolled: 3-line block ×3, first 2 shown]
	v_add_f64 v[80:81], v[166:167], v[168:169]
	v_add_f64 v[82:83], v[98:99], v[152:153]
	v_fma_f64 v[8:9], v[8:9], -0.5, v[98:99]
	v_add_f64 v[0:1], v[4:5], -v[0:1]
	v_add_f64 v[4:5], v[32:33], v[6:7]
	v_fma_f64 v[32:33], v[50:51], -0.5, v[32:33]
	v_add_f64 v[50:51], v[166:167], -v[168:169]
	;; [unrolled: 3-line block ×3, first 2 shown]
	v_add_f64 v[152:153], v[82:83], v[162:163]
	v_fma_f64 v[162:163], v[0:1], s[6:7], v[8:9]
	v_fma_f64 v[164:165], v[0:1], s[4:5], v[8:9]
	v_add_f64 v[0:1], v[4:5], v[2:3]
	v_fma_f64 v[2:3], v[50:51], s[4:5], v[32:33]
	v_fma_f64 v[4:5], v[50:51], s[6:7], v[32:33]
	;; [unrolled: 3-line block ×3, first 2 shown]
	v_mov_b32_e32 v6, 0x1c20
	v_cndmask_b32_e64 v6, 0, v6, s[0:1]
	v_lshlrev_b32_e32 v7, 3, v68
	ds_write_b64 v100, v[160:161]
	ds_write_b64 v100, v[78:79] offset:2400
	ds_write_b64 v100, v[56:57] offset:4800
	ds_write_b64 v104, v[94:95]
	ds_write_b64 v104, v[76:77] offset:2400
	ds_write_b64 v104, v[54:55] offset:4800
	;; [unrolled: 3-line block ×3, first 2 shown]
	v_add3_u32 v68, 0, v6, v7
	v_add_u32_e32 v94, 0x1c00, v100
	v_mul_u32_u24_e32 v6, 0x1c20, v60
	v_lshlrev_b32_e32 v7, 3, v69
	ds_write_b64 v68, v[58:59]
	ds_write_b64 v68, v[30:31] offset:2400
	ds_write_b64 v68, v[46:47] offset:4800
	ds_write2_b64 v94, v[62:63], v[52:53] offset0:64 offset1:154
	ds_write2_b64 v109, v[20:21], v[22:23] offset0:108 offset1:198
	;; [unrolled: 1-line block ×3, first 2 shown]
	v_add3_u32 v20, 0, v6, v7
	v_lshl_add_u32 v21, v246, 3, 0
	ds_write_b64 v20, v[26:27]
	ds_write_b64 v20, v[12:13] offset:2400
	ds_write_b64 v20, v[38:39] offset:4800
	;; [unrolled: 1-line block ×5, first 2 shown]
	v_lshl_add_u32 v10, v247, 3, 0
	v_lshl_add_u32 v11, v248, 3, 0
	ds_write_b64 v10, v[24:25] offset:14400
	ds_write_b64 v10, v[70:71] offset:16800
	;; [unrolled: 1-line block ×6, first 2 shown]
	s_waitcnt lgkmcnt(0)
	s_barrier
	ds_read2_b64 v[32:35], v103 offset0:132 offset1:222
	ds_read2_b64 v[36:39], v102 offset0:8 offset1:98
	ds_read2_b64 v[44:47], v105 offset0:56 offset1:146
	ds_read2_b64 v[48:51], v106 offset0:60 offset1:150
	ds_read_b64 v[74:75], v100
	ds_read_b64 v[76:77], v104
	;; [unrolled: 1-line block ×4, first 2 shown]
	ds_read2_b64 v[52:55], v109 offset0:108 offset1:198
	ds_read2_b64 v[56:59], v110 offset0:112 offset1:202
	;; [unrolled: 1-line block ×4, first 2 shown]
	ds_read_b64 v[70:71], v87
	ds_read_b64 v[40:41], v88
	;; [unrolled: 1-line block ×4, first 2 shown]
	ds_read2_b64 v[0:3], v117 offset0:84 offset1:174
	ds_read2_b64 v[4:7], v118 offset0:88 offset1:178
	ds_read_b64 v[62:63], v119
	ds_read_b64 v[8:9], v133
	s_waitcnt lgkmcnt(0)
	s_barrier
	ds_write_b64 v100, v[90:91]
	ds_write_b64 v100, v[172:173] offset:2400
	ds_write_b64 v100, v[64:65] offset:4800
	ds_write_b64 v104, v[136:137]
	ds_write_b64 v104, v[170:171] offset:2400
	ds_write_b64 v104, v[174:175] offset:4800
	;; [unrolled: 3-line block ×4, first 2 shown]
	ds_write2_b64 v94, v[134:135], v[148:149] offset0:64 offset1:154
	ds_write2_b64 v109, v[146:147], v[150:151] offset0:108 offset1:198
	;; [unrolled: 1-line block ×3, first 2 shown]
	ds_write_b64 v20, v[130:131]
	ds_write_b64 v20, v[140:141] offset:2400
	ds_write_b64 v20, v[144:145] offset:4800
	;; [unrolled: 1-line block ×11, first 2 shown]
	s_waitcnt lgkmcnt(0)
	s_barrier
	s_and_saveexec_b64 s[0:1], vcc
	s_cbranch_execz .LBB0_15
; %bb.14:
	v_lshlrev_b32_e32 v60, 1, v129
	v_lshlrev_b64 v[10:11], 4, v[60:61]
	v_mov_b32_e32 v64, s9
	v_add_co_u32_e32 v14, vcc, s8, v10
	v_addc_co_u32_e32 v15, vcc, v64, v11, vcc
	v_add_co_u32_e32 v10, vcc, 0x3810, v14
	v_addc_co_u32_e32 v11, vcc, 0, v15, vcc
	;; [unrolled: 2-line block ×3, first 2 shown]
	global_load_dwordx4 v[14:17], v[22:23], off offset:2064
	global_load_dwordx4 v[18:21], v[10:11], off offset:16
	v_lshlrev_b32_e32 v60, 1, v128
	v_lshlrev_b64 v[10:11], 4, v[60:61]
	s_movk_i32 s0, 0x3810
	v_add_co_u32_e32 v22, vcc, s8, v10
	v_addc_co_u32_e32 v23, vcc, v64, v11, vcc
	v_add_co_u32_e32 v10, vcc, s10, v22
	v_addc_co_u32_e32 v11, vcc, 0, v23, vcc
	global_load_dwordx4 v[91:94], v[10:11], off offset:2064
	v_add_co_u32_e32 v10, vcc, s0, v22
	v_addc_co_u32_e32 v11, vcc, 0, v23, vcc
	global_load_dwordx4 v[95:98], v[10:11], off offset:16
	v_lshlrev_b32_e32 v60, 1, v127
	v_lshlrev_b64 v[10:11], 4, v[60:61]
	v_lshlrev_b32_e32 v60, 1, v126
	v_add_co_u32_e32 v22, vcc, s8, v10
	v_addc_co_u32_e32 v23, vcc, v64, v11, vcc
	v_add_co_u32_e32 v10, vcc, s0, v22
	v_addc_co_u32_e32 v11, vcc, 0, v23, vcc
	v_add_co_u32_e32 v22, vcc, s10, v22
	v_addc_co_u32_e32 v23, vcc, 0, v23, vcc
	global_load_dwordx4 v[127:130], v[22:23], off offset:2064
	global_load_dwordx4 v[131:134], v[10:11], off offset:16
	v_sub_u32_e32 v10, 0, v116
	v_add_u32_e32 v99, v113, v10
	v_lshlrev_b64 v[10:11], 4, v[60:61]
	v_sub_u32_e32 v90, 0, v114
	v_add_co_u32_e32 v42, vcc, s8, v10
	v_addc_co_u32_e32 v43, vcc, v64, v11, vcc
	v_add_co_u32_e32 v10, vcc, s0, v42
	v_addc_co_u32_e32 v11, vcc, 0, v43, vcc
	;; [unrolled: 2-line block ×3, first 2 shown]
	v_sub_u32_e32 v65, 0, v115
	ds_read2_b64 v[114:117], v117 offset0:84 offset1:174
	ds_read2_b64 v[135:138], v118 offset0:88 offset1:178
	global_load_dwordx4 v[139:142], v[42:43], off offset:2064
	global_load_dwordx4 v[143:146], v[10:11], off offset:16
	v_lshlrev_b32_e32 v60, 1, v125
	v_lshlrev_b64 v[22:23], 4, v[60:61]
	v_add_co_u32_e32 v60, vcc, s8, v22
	v_addc_co_u32_e32 v69, vcc, v64, v23, vcc
	v_add_co_u32_e32 v10, vcc, s0, v60
	v_addc_co_u32_e32 v11, vcc, 0, v69, vcc
	;; [unrolled: 2-line block ×3, first 2 shown]
	v_lshlrev_b32_e32 v60, 1, v124
	s_waitcnt vmcnt(7)
	v_mul_f64 v[22:23], v[2:3], v[16:17]
	s_waitcnt vmcnt(6)
	v_mul_f64 v[42:43], v[6:7], v[20:21]
	s_waitcnt lgkmcnt(1)
	v_mul_f64 v[16:17], v[116:117], v[16:17]
	s_waitcnt lgkmcnt(0)
	v_mul_f64 v[20:21], v[137:138], v[20:21]
	v_fma_f64 v[22:23], v[14:15], v[116:117], -v[22:23]
	v_fma_f64 v[42:43], v[18:19], v[137:138], -v[42:43]
	v_fma_f64 v[2:3], v[2:3], v[14:15], v[16:17]
	v_fma_f64 v[14:15], v[6:7], v[18:19], v[20:21]
	global_load_dwordx4 v[116:119], v[68:69], off offset:2064
	global_load_dwordx4 v[147:150], v[10:11], off offset:16
	s_waitcnt vmcnt(7)
	v_mul_f64 v[125:126], v[0:1], v[93:94]
	ds_read_b64 v[18:19], v99
	v_mul_f64 v[6:7], v[114:115], v[93:94]
	v_add_f64 v[16:17], v[22:23], v[42:43]
	s_waitcnt vmcnt(6)
	v_mul_f64 v[137:138], v[4:5], v[97:98]
	v_mul_f64 v[10:11], v[135:136], v[97:98]
	v_add_f64 v[97:98], v[2:3], v[14:15]
	v_fma_f64 v[20:21], v[91:92], v[114:115], -v[125:126]
	ds_read_b64 v[125:126], v89
	s_waitcnt lgkmcnt(1)
	v_add_f64 v[113:114], v[18:19], v[22:23]
	v_add_f64 v[93:94], v[2:3], -v[14:15]
	v_fma_f64 v[16:17], v[16:17], -0.5, v[18:19]
	v_fma_f64 v[68:69], v[95:96], v[135:136], -v[137:138]
	v_fma_f64 v[137:138], v[0:1], v[91:92], v[6:7]
	v_fma_f64 v[151:152], v[4:5], v[95:96], v[10:11]
	v_add_f64 v[4:5], v[22:23], -v[42:43]
	v_fma_f64 v[18:19], v[97:98], -0.5, v[8:9]
	v_add_f64 v[10:11], v[113:114], v[42:43]
	ds_read_b64 v[42:43], v88
	s_waitcnt vmcnt(5)
	v_mul_f64 v[88:89], v[26:27], v[129:130]
	v_add_f64 v[0:1], v[20:21], v[68:69]
	s_waitcnt vmcnt(4)
	v_mul_f64 v[113:114], v[30:31], v[133:134]
	v_add_f64 v[8:9], v[8:9], v[2:3]
	v_fma_f64 v[2:3], v[93:94], s[4:5], v[16:17]
	v_fma_f64 v[6:7], v[93:94], s[6:7], v[16:17]
	ds_read2_b64 v[91:94], v112 offset0:160 offset1:250
	ds_read2_b64 v[95:98], v111 offset0:36 offset1:126
	v_add_f64 v[22:23], v[137:138], -v[151:152]
	v_add_f64 v[153:154], v[137:138], v[151:152]
	s_waitcnt lgkmcnt(3)
	v_fma_f64 v[16:17], v[0:1], -0.5, v[125:126]
	v_fma_f64 v[0:1], v[4:5], s[6:7], v[18:19]
	v_fma_f64 v[4:5], v[4:5], s[4:5], v[18:19]
	s_waitcnt lgkmcnt(1)
	v_fma_f64 v[88:89], v[127:128], v[93:94], -v[88:89]
	s_waitcnt lgkmcnt(0)
	v_fma_f64 v[155:156], v[131:132], v[97:98], -v[113:114]
	v_mul_f64 v[18:19], v[93:94], v[129:130]
	v_mul_f64 v[93:94], v[97:98], v[133:134]
	v_lshlrev_b64 v[97:98], 4, v[60:61]
	v_add_f64 v[8:9], v[8:9], v[14:15]
	v_add_co_u32_e32 v60, vcc, s8, v97
	v_addc_co_u32_e32 v99, vcc, v64, v98, vcc
	v_add_co_u32_e32 v97, vcc, s0, v60
	v_addc_co_u32_e32 v98, vcc, 0, v99, vcc
	;; [unrolled: 2-line block ×3, first 2 shown]
	global_load_dwordx4 v[111:114], v[111:112], off offset:2064
	s_nop 0
	global_load_dwordx4 v[133:136], v[97:98], off offset:16
	v_fma_f64 v[14:15], v[22:23], s[4:5], v[16:17]
	v_fma_f64 v[127:128], v[26:27], v[127:128], v[18:19]
	;; [unrolled: 1-line block ×4, first 2 shown]
	v_add_f64 v[16:17], v[125:126], v[20:21]
	v_fma_f64 v[26:27], v[153:154], -0.5, v[12:13]
	v_add_f64 v[20:21], v[20:21], -v[68:69]
	v_add_f64 v[30:31], v[12:13], v[137:138]
	s_waitcnt vmcnt(5)
	v_mul_f64 v[129:130], v[24:25], v[141:142]
	v_add_f64 v[97:98], v[88:89], v[155:156]
	s_waitcnt vmcnt(4)
	v_mul_f64 v[137:138], v[28:29], v[145:146]
	v_add_f64 v[124:125], v[127:128], -v[93:94]
	v_add_f64 v[22:23], v[16:17], v[68:69]
	v_add_f64 v[68:69], v[127:128], v[93:94]
	v_fma_f64 v[12:13], v[20:21], s[6:7], v[26:27]
	v_fma_f64 v[16:17], v[20:21], s[4:5], v[26:27]
	v_add_f64 v[20:21], v[30:31], v[151:152]
	v_fma_f64 v[151:152], v[139:140], v[91:92], -v[129:130]
	v_mul_f64 v[91:92], v[91:92], v[141:142]
	v_fma_f64 v[97:98], v[97:98], -0.5, v[42:43]
	v_fma_f64 v[153:154], v[143:144], v[95:96], -v[137:138]
	v_lshlrev_b32_e32 v60, 1, v123
	v_lshlrev_b64 v[60:61], 4, v[60:61]
	v_mul_f64 v[95:96], v[95:96], v[145:146]
	ds_read_b64 v[131:132], v87
	v_add_f64 v[42:43], v[42:43], v[88:89]
	v_fma_f64 v[145:146], v[24:25], v[139:140], v[91:92]
	v_add_u32_e32 v24, v108, v65
	ds_read_b64 v[159:160], v24
	v_add_co_u32_e32 v65, vcc, s8, v60
	v_addc_co_u32_e32 v64, vcc, v64, v61, vcc
	v_add_co_u32_e32 v60, vcc, s10, v65
	v_addc_co_u32_e32 v61, vcc, 0, v64, vcc
	v_fma_f64 v[26:27], v[124:125], s[4:5], v[97:98]
	v_fma_f64 v[30:31], v[124:125], s[6:7], v[97:98]
	v_fma_f64 v[68:69], v[68:69], -0.5, v[40:41]
	v_add_f64 v[87:88], v[88:89], -v[155:156]
	v_add_f64 v[40:41], v[40:41], v[127:128]
	v_add_f64 v[97:98], v[151:152], v[153:154]
	global_load_dwordx4 v[123:126], v[60:61], off offset:2064
	v_add_co_u32_e32 v60, vcc, s0, v65
	v_addc_co_u32_e32 v61, vcc, 0, v64, vcc
	global_load_dwordx4 v[127:130], v[60:61], off offset:16
	v_add_co_u32_e32 v60, vcc, s0, v66
	v_addc_co_u32_e32 v61, vcc, 0, v67, vcc
	v_add_co_u32_e32 v64, vcc, s10, v66
	v_addc_co_u32_e32 v65, vcc, 0, v67, vcc
	v_fma_f64 v[157:158], v[28:29], v[143:144], v[95:96]
	v_fma_f64 v[24:25], v[87:88], s[6:7], v[68:69]
	;; [unrolled: 1-line block ×3, first 2 shown]
	v_add_f64 v[40:41], v[40:41], v[93:94]
	s_waitcnt lgkmcnt(0)
	v_fma_f64 v[68:69], v[97:98], -0.5, v[159:160]
	ds_read2_b64 v[91:94], v109 offset0:108 offset1:198
	ds_read2_b64 v[95:98], v110 offset0:112 offset1:202
	global_load_dwordx4 v[137:140], v[64:65], off offset:2064
	global_load_dwordx4 v[141:144], v[60:61], off offset:16
	v_add_f64 v[87:88], v[145:146], -v[157:158]
	s_waitcnt vmcnt(6)
	v_mul_f64 v[161:162], v[58:59], v[149:150]
	v_add_f64 v[42:43], v[42:43], v[155:156]
	v_add_f64 v[155:156], v[145:146], v[157:158]
	v_mul_f64 v[108:109], v[54:55], v[118:119]
	v_add_f64 v[66:67], v[159:160], v[151:152]
	v_add_f64 v[145:146], v[62:63], v[145:146]
	v_fma_f64 v[60:61], v[87:88], s[4:5], v[68:69]
	v_fma_f64 v[64:65], v[87:88], s[6:7], v[68:69]
	s_waitcnt lgkmcnt(0)
	v_fma_f64 v[159:160], v[147:148], v[97:98], -v[161:162]
	v_mul_f64 v[68:69], v[93:94], v[118:119]
	v_mul_f64 v[87:88], v[97:98], v[149:150]
	s_waitcnt vmcnt(5)
	v_mul_f64 v[97:98], v[52:53], v[113:114]
	v_fma_f64 v[108:109], v[116:117], v[93:94], -v[108:109]
	v_fma_f64 v[93:94], v[155:156], -0.5, v[62:63]
	v_add_f64 v[149:150], v[151:152], -v[153:154]
	s_waitcnt vmcnt(4)
	v_mul_f64 v[118:119], v[56:57], v[135:136]
	v_mul_f64 v[135:136], v[95:96], v[135:136]
	v_fma_f64 v[155:156], v[54:55], v[116:117], v[68:69]
	v_add_f64 v[68:69], v[66:67], v[153:154]
	v_fma_f64 v[161:162], v[111:112], v[91:92], -v[97:98]
	v_mul_f64 v[153:154], v[91:92], v[113:114]
	v_add_co_u32_e32 v91, vcc, s0, v85
	v_addc_co_u32_e32 v92, vcc, 0, v86, vcc
	v_add_co_u32_e32 v85, vcc, s10, v85
	v_addc_co_u32_e32 v86, vcc, 0, v86, vcc
	v_fma_f64 v[147:148], v[58:59], v[147:148], v[87:88]
	v_fma_f64 v[58:59], v[149:150], s[6:7], v[93:94]
	v_fma_f64 v[62:63], v[149:150], s[4:5], v[93:94]
	global_load_dwordx4 v[85:88], v[85:86], off offset:2064
	s_nop 0
	global_load_dwordx4 v[91:94], v[91:92], off offset:16
	v_add_co_u32_e32 v113, vcc, s0, v73
	v_addc_co_u32_e32 v114, vcc, 0, v84, vcc
	v_fma_f64 v[117:118], v[133:134], v[95:96], -v[118:119]
	v_add_co_u32_e32 v95, vcc, s10, v73
	v_addc_co_u32_e32 v96, vcc, 0, v84, vcc
	global_load_dwordx4 v[95:98], v[95:96], off offset:2064
	s_nop 0
	global_load_dwordx4 v[113:116], v[113:114], off offset:16
	v_add_f64 v[151:152], v[108:109], v[159:160]
	v_add_f64 v[54:55], v[155:156], v[147:148]
	;; [unrolled: 1-line block ×3, first 2 shown]
	v_fma_f64 v[111:112], v[52:53], v[111:112], v[153:154]
	v_fma_f64 v[56:57], v[56:57], v[133:134], v[135:136]
	ds_read_b64 v[135:136], v72
	v_add_f64 v[149:150], v[155:156], -v[147:148]
	v_add_f64 v[153:154], v[108:109], -v[159:160]
	v_fma_f64 v[145:146], v[151:152], -0.5, v[131:132]
	v_add_f64 v[151:152], v[161:162], v[117:118]
	v_add_f64 v[131:132], v[131:132], v[108:109]
	v_fma_f64 v[133:134], v[54:55], -0.5, v[70:71]
	v_add_f64 v[155:156], v[70:71], v[155:156]
	v_add_u32_e32 v84, v101, v90
	ds_read_b64 v[89:90], v84
	ds_read_b64 v[99:100], v100
	ds_read_b64 v[157:158], v107
	s_waitcnt lgkmcnt(3)
	v_fma_f64 v[151:152], v[151:152], -0.5, v[135:136]
	v_add_f64 v[163:164], v[111:112], -v[56:57]
	v_add_f64 v[109:110], v[131:132], v[159:160]
	v_fma_f64 v[52:53], v[153:154], s[6:7], v[133:134]
	v_fma_f64 v[70:71], v[153:154], s[4:5], v[133:134]
	v_add_f64 v[133:134], v[135:136], v[161:162]
	v_add_f64 v[107:108], v[155:156], v[147:148]
	;; [unrolled: 1-line block ×3, first 2 shown]
	s_waitcnt vmcnt(7)
	v_mul_f64 v[159:160], v[46:47], v[125:126]
	v_fma_f64 v[54:55], v[149:150], s[4:5], v[145:146]
	v_fma_f64 v[72:73], v[149:150], s[6:7], v[145:146]
	;; [unrolled: 1-line block ×4, first 2 shown]
	ds_read2_b64 v[145:148], v105 offset0:56 offset1:146
	ds_read2_b64 v[151:154], v106 offset0:60 offset1:150
	s_waitcnt vmcnt(6)
	v_mul_f64 v[163:164], v[50:51], v[129:130]
	v_add_f64 v[149:150], v[133:134], v[117:118]
	v_fma_f64 v[105:106], v[155:156], -0.5, v[82:83]
	s_waitcnt lgkmcnt(1)
	v_fma_f64 v[155:156], v[123:124], v[147:148], -v[159:160]
	v_mul_f64 v[125:126], v[147:148], v[125:126]
	s_waitcnt lgkmcnt(0)
	v_mul_f64 v[129:130], v[153:154], v[129:130]
	s_waitcnt vmcnt(5)
	v_mul_f64 v[133:134], v[44:45], v[139:140]
	s_waitcnt vmcnt(4)
	v_mul_f64 v[147:148], v[48:49], v[143:144]
	v_add_f64 v[117:118], v[161:162], -v[117:118]
	v_fma_f64 v[153:154], v[127:128], v[153:154], -v[163:164]
	v_add_f64 v[82:83], v[82:83], v[111:112]
	v_fma_f64 v[46:47], v[46:47], v[123:124], v[125:126]
	v_fma_f64 v[111:112], v[50:51], v[127:128], v[129:130]
	v_fma_f64 v[127:128], v[137:138], v[145:146], -v[133:134]
	v_fma_f64 v[159:160], v[141:142], v[151:152], -v[147:148]
	v_mul_f64 v[123:124], v[145:146], v[139:140]
	v_mul_f64 v[125:126], v[151:152], v[143:144]
	v_add_f64 v[50:51], v[155:156], v[153:154]
	v_fma_f64 v[129:130], v[117:118], s[6:7], v[105:106]
	v_fma_f64 v[133:134], v[117:118], s[4:5], v[105:106]
	v_add_f64 v[105:106], v[46:47], v[111:112]
	v_add_f64 v[147:148], v[82:83], v[56:57]
	;; [unrolled: 1-line block ×3, first 2 shown]
	v_fma_f64 v[117:118], v[44:45], v[137:138], v[123:124]
	v_fma_f64 v[141:142], v[48:49], v[141:142], v[125:126]
	v_fma_f64 v[50:51], v[50:51], -0.5, v[89:90]
	v_add_f64 v[44:45], v[46:47], -v[111:112]
	v_add_f64 v[48:49], v[89:90], v[155:156]
	v_fma_f64 v[89:90], v[105:106], -0.5, v[80:81]
	v_add_f64 v[105:106], v[155:156], -v[153:154]
	v_fma_f64 v[56:57], v[56:57], -0.5, v[157:158]
	v_add_f64 v[80:81], v[80:81], v[46:47]
	v_add_f64 v[123:124], v[117:118], -v[141:142]
	ds_read_b64 v[143:144], v104
	v_fma_f64 v[46:47], v[44:45], s[4:5], v[50:51]
	v_fma_f64 v[50:51], v[44:45], s[6:7], v[50:51]
	v_add_f64 v[82:83], v[48:49], v[153:154]
	v_fma_f64 v[44:45], v[105:106], s[6:7], v[89:90]
	v_fma_f64 v[48:49], v[105:106], s[4:5], v[89:90]
	ds_read2_b64 v[137:140], v102 offset0:8 offset1:98
	v_fma_f64 v[89:90], v[123:124], s[4:5], v[56:57]
	v_fma_f64 v[104:105], v[123:124], s[6:7], v[56:57]
	ds_read2_b64 v[123:126], v103 offset0:132 offset1:222
	v_add_f64 v[80:81], v[80:81], v[111:112]
	s_waitcnt vmcnt(2) lgkmcnt(1)
	v_mul_f64 v[153:154], v[139:140], v[93:94]
	v_add_f64 v[111:112], v[117:118], v[141:142]
	v_mul_f64 v[56:57], v[34:35], v[87:88]
	s_waitcnt lgkmcnt(0)
	v_mul_f64 v[151:152], v[125:126], v[87:88]
	v_mul_f64 v[145:146], v[38:39], v[93:94]
	v_add_f64 v[101:102], v[157:158], v[127:128]
	v_add_f64 v[127:128], v[127:128], -v[159:160]
	v_fma_f64 v[38:39], v[38:39], v[91:92], v[153:154]
	v_fma_f64 v[111:112], v[111:112], -0.5, v[78:79]
	v_fma_f64 v[56:57], v[85:86], v[125:126], -v[56:57]
	v_fma_f64 v[34:35], v[34:35], v[85:86], v[151:152]
	v_fma_f64 v[125:126], v[91:92], v[139:140], -v[145:146]
	s_waitcnt vmcnt(1)
	v_mul_f64 v[139:140], v[32:33], v[97:98]
	s_waitcnt vmcnt(0)
	v_mul_f64 v[145:146], v[36:37], v[115:116]
	v_mul_f64 v[91:92], v[123:124], v[97:98]
	;; [unrolled: 1-line block ×3, first 2 shown]
	v_add_f64 v[93:94], v[101:102], v[159:160]
	v_fma_f64 v[87:88], v[127:128], s[6:7], v[111:112]
	v_add_f64 v[115:116], v[34:35], v[38:39]
	v_fma_f64 v[102:103], v[127:128], s[4:5], v[111:112]
	v_fma_f64 v[111:112], v[95:96], v[123:124], -v[139:140]
	v_fma_f64 v[127:128], v[113:114], v[137:138], -v[145:146]
	v_fma_f64 v[32:33], v[32:33], v[95:96], v[91:92]
	v_fma_f64 v[137:138], v[36:37], v[113:114], v[97:98]
	v_add_f64 v[95:96], v[143:144], v[56:57]
	v_add_f64 v[84:85], v[56:57], v[125:126]
	v_fma_f64 v[113:114], v[115:116], -0.5, v[76:77]
	v_add_f64 v[115:116], v[76:77], v[34:35]
	v_add_f64 v[78:79], v[78:79], v[117:118]
	;; [unrolled: 1-line block ×3, first 2 shown]
	v_add_f64 v[117:118], v[34:35], -v[38:39]
	v_add_f64 v[56:57], v[56:57], -v[125:126]
	v_add_f64 v[97:98], v[95:96], v[125:126]
	v_fma_f64 v[84:85], v[84:85], -0.5, v[143:144]
	v_add_f64 v[139:140], v[32:33], -v[137:138]
	v_add_f64 v[95:96], v[115:116], v[38:39]
	v_add_f64 v[38:39], v[99:100], v[111:112]
	;; [unrolled: 1-line block ×4, first 2 shown]
	v_fma_f64 v[123:124], v[123:124], -0.5, v[99:100]
	v_mad_u64_u32 v[99:100], s[0:1], s2, v122, 0
	v_add_f64 v[32:33], v[74:75], v[32:33]
	v_fma_f64 v[36:37], v[117:118], s[4:5], v[84:85]
	v_add_f64 v[125:126], v[38:39], v[127:128]
	v_mov_b32_e32 v38, v100
	v_mad_u64_u32 v[38:39], s[0:1], s3, v122, v[38:39]
	v_fma_f64 v[78:79], v[117:118], s[6:7], v[84:85]
	v_fma_f64 v[34:35], v[56:57], s[6:7], v[113:114]
	;; [unrolled: 1-line block ×3, first 2 shown]
	v_fma_f64 v[56:57], v[141:142], -0.5, v[74:75]
	v_add_f64 v[84:85], v[111:112], -v[127:128]
	v_add_u32_e32 v74, 0x384, v122
	v_mov_b32_e32 v100, v38
	v_mad_u64_u32 v[38:39], s[0:1], s2, v74, 0
	v_fma_f64 v[113:114], v[139:140], s[4:5], v[123:124]
	v_fma_f64 v[117:118], v[139:140], s[6:7], v[123:124]
	v_add_f64 v[123:124], v[32:33], v[137:138]
	v_mad_u64_u32 v[74:75], s[0:1], s3, v74, v[39:40]
	v_fma_f64 v[111:112], v[84:85], s[6:7], v[56:57]
	v_fma_f64 v[115:116], v[84:85], s[4:5], v[56:57]
	v_mov_b32_e32 v33, s13
	v_add_co_u32_e32 v32, vcc, s12, v120
	v_lshlrev_b64 v[56:57], 4, v[99:100]
	v_addc_co_u32_e32 v33, vcc, v33, v121, vcc
	v_add_co_u32_e32 v56, vcc, v32, v56
	v_addc_co_u32_e32 v57, vcc, v33, v57, vcc
	v_mov_b32_e32 v39, v74
	v_add_u32_e32 v74, 0x708, v122
	global_store_dwordx4 v[56:57], v[123:126], off
	v_lshlrev_b64 v[38:39], 4, v[38:39]
	v_mad_u64_u32 v[56:57], s[0:1], s2, v74, 0
	v_add_co_u32_e32 v38, vcc, v32, v38
	v_addc_co_u32_e32 v39, vcc, v33, v39, vcc
	global_store_dwordx4 v[38:39], v[115:118], off
	v_mov_b32_e32 v38, v57
	v_mad_u64_u32 v[38:39], s[0:1], s3, v74, v[38:39]
	v_add_u32_e32 v84, 0x5a, v122
	v_mad_u64_u32 v[74:75], s[0:1], s2, v84, 0
	v_mov_b32_e32 v57, v38
	v_lshlrev_b64 v[38:39], 4, v[56:57]
	v_mov_b32_e32 v56, v75
	v_mad_u64_u32 v[56:57], s[4:5], s3, v84, v[56:57]
	v_add_co_u32_e32 v38, vcc, v32, v38
	v_addc_co_u32_e32 v39, vcc, v33, v39, vcc
	v_mov_b32_e32 v75, v56
	global_store_dwordx4 v[38:39], v[111:114], off
	v_lshlrev_b64 v[38:39], 4, v[74:75]
	v_add_u32_e32 v74, 0x3de, v122
	v_mad_u64_u32 v[56:57], s[4:5], s2, v74, 0
	v_add_co_u32_e32 v38, vcc, v32, v38
	v_mad_u64_u32 v[74:75], s[4:5], s3, v74, v[57:58]
	v_add_u32_e32 v75, 0x762, v122
	v_mad_u64_u32 v[84:85], s[4:5], s2, v75, 0
	v_addc_co_u32_e32 v39, vcc, v33, v39, vcc
	v_mov_b32_e32 v57, v74
	global_store_dwordx4 v[38:39], v[95:98], off
	v_lshlrev_b64 v[38:39], 4, v[56:57]
	v_mov_b32_e32 v56, v85
	v_mad_u64_u32 v[56:57], s[4:5], s3, v75, v[56:57]
	v_add_u32_e32 v74, 0xb4, v122
	v_add_co_u32_e32 v38, vcc, v32, v38
	v_mov_b32_e32 v85, v56
	v_mad_u64_u32 v[56:57], s[4:5], s2, v74, 0
	v_addc_co_u32_e32 v39, vcc, v33, v39, vcc
	global_store_dwordx4 v[38:39], v[76:79], off
	v_mad_u64_u32 v[74:75], s[4:5], s3, v74, v[57:58]
	v_add_u32_e32 v77, 0x438, v122
	v_lshlrev_b64 v[38:39], 4, v[84:85]
	v_mad_u64_u32 v[75:76], s[4:5], s2, v77, 0
	v_add_co_u32_e32 v38, vcc, v32, v38
	v_addc_co_u32_e32 v39, vcc, v33, v39, vcc
	global_store_dwordx4 v[38:39], v[34:37], off
	v_add_u32_e32 v38, 0x7bc, v122
	v_mov_b32_e32 v36, v76
	v_mad_u64_u32 v[36:37], s[4:5], s3, v77, v[36:37]
	v_mov_b32_e32 v57, v74
	v_lshlrev_b64 v[34:35], 4, v[56:57]
	v_mov_b32_e32 v76, v36
	v_mad_u64_u32 v[36:37], s[4:5], s2, v38, 0
	v_add_co_u32_e32 v34, vcc, v32, v34
	v_addc_co_u32_e32 v35, vcc, v33, v35, vcc
	v_mad_u64_u32 v[37:38], s[4:5], s3, v38, v[37:38]
	v_add_u32_e32 v56, 0x10e, v122
	global_store_dwordx4 v[34:35], v[91:94], off
	v_lshlrev_b64 v[34:35], 4, v[75:76]
	v_mad_u64_u32 v[38:39], s[4:5], s2, v56, 0
	v_add_co_u32_e32 v34, vcc, v32, v34
	v_addc_co_u32_e32 v35, vcc, v33, v35, vcc
	global_store_dwordx4 v[34:35], v[102:105], off
	v_lshlrev_b64 v[34:35], 4, v[36:37]
	v_mov_b32_e32 v36, v39
	v_mad_u64_u32 v[36:37], s[4:5], s3, v56, v[36:37]
	v_add_co_u32_e32 v34, vcc, v32, v34
	v_addc_co_u32_e32 v35, vcc, v33, v35, vcc
	v_mov_b32_e32 v39, v36
	global_store_dwordx4 v[34:35], v[87:90], off
	v_lshlrev_b64 v[34:35], 4, v[38:39]
	v_add_u32_e32 v38, 0x492, v122
	v_mad_u64_u32 v[36:37], s[4:5], s2, v38, 0
	v_add_u32_e32 v56, 0x816, v122
	v_add_co_u32_e32 v34, vcc, v32, v34
	v_mad_u64_u32 v[37:38], s[4:5], s3, v38, v[37:38]
	v_mad_u64_u32 v[38:39], s[4:5], s2, v56, 0
	v_addc_co_u32_e32 v35, vcc, v33, v35, vcc
	global_store_dwordx4 v[34:35], v[80:83], off
	v_lshlrev_b64 v[34:35], 4, v[36:37]
	v_mov_b32_e32 v36, v39
	v_mad_u64_u32 v[36:37], s[4:5], s3, v56, v[36:37]
	v_add_co_u32_e32 v34, vcc, v32, v34
	v_addc_co_u32_e32 v35, vcc, v33, v35, vcc
	v_mov_b32_e32 v39, v36
	global_store_dwordx4 v[34:35], v[48:51], off
	v_lshlrev_b64 v[34:35], 4, v[38:39]
	v_add_u32_e32 v38, 0x168, v122
	v_mad_u64_u32 v[36:37], s[4:5], s2, v38, 0
	v_add_u32_e32 v48, 0x4ec, v122
	v_add_co_u32_e32 v34, vcc, v32, v34
	v_mad_u64_u32 v[37:38], s[4:5], s3, v38, v[37:38]
	v_mad_u64_u32 v[38:39], s[4:5], s2, v48, 0
	v_addc_co_u32_e32 v35, vcc, v33, v35, vcc
	global_store_dwordx4 v[34:35], v[44:47], off
	v_lshlrev_b64 v[34:35], 4, v[36:37]
	v_mov_b32_e32 v36, v39
	v_mad_u64_u32 v[36:37], s[4:5], s3, v48, v[36:37]
	v_add_co_u32_e32 v34, vcc, v32, v34
	v_addc_co_u32_e32 v35, vcc, v33, v35, vcc
	v_mov_b32_e32 v39, v36
	global_store_dwordx4 v[34:35], v[147:150], off
	v_lshlrev_b64 v[34:35], 4, v[38:39]
	v_add_u32_e32 v38, 0x870, v122
	v_mad_u64_u32 v[36:37], s[4:5], s2, v38, 0
	s_mov_b32 s1, 0x91a2b3c5
	v_add_co_u32_e32 v34, vcc, v32, v34
	v_mad_u64_u32 v[37:38], s[4:5], s3, v38, v[37:38]
	v_add_u32_e32 v38, 0x1c2, v122
	v_mul_hi_u32 v39, v38, s1
	v_addc_co_u32_e32 v35, vcc, v33, v35, vcc
	s_movk_i32 s0, 0x708
	global_store_dwordx4 v[34:35], v[133:136], off
	v_lshlrev_b64 v[34:35], 4, v[36:37]
	v_lshrrev_b32_e32 v36, 9, v39
	v_mad_u32_u24 v44, v36, s0, v38
	v_mad_u64_u32 v[36:37], s[4:5], s2, v44, 0
	v_add_u32_e32 v45, 0x384, v44
	v_add_co_u32_e32 v34, vcc, v32, v34
	v_mad_u64_u32 v[37:38], s[4:5], s3, v44, v[37:38]
	v_mad_u64_u32 v[38:39], s[4:5], s2, v45, 0
	v_addc_co_u32_e32 v35, vcc, v33, v35, vcc
	global_store_dwordx4 v[34:35], v[129:132], off
	v_lshlrev_b64 v[34:35], 4, v[36:37]
	v_mov_b32_e32 v36, v39
	v_mad_u64_u32 v[36:37], s[4:5], s3, v45, v[36:37]
	v_add_co_u32_e32 v34, vcc, v32, v34
	v_addc_co_u32_e32 v35, vcc, v33, v35, vcc
	v_mov_b32_e32 v39, v36
	global_store_dwordx4 v[34:35], v[107:110], off
	v_lshlrev_b64 v[34:35], 4, v[38:39]
	v_add_u32_e32 v38, 0x708, v44
	v_mad_u64_u32 v[36:37], s[4:5], s2, v38, 0
	v_add_u32_e32 v44, 0x21c, v122
	v_add_co_u32_e32 v34, vcc, v32, v34
	v_mad_u64_u32 v[37:38], s[4:5], s3, v38, v[37:38]
	v_mad_u64_u32 v[38:39], s[4:5], s2, v44, 0
	v_addc_co_u32_e32 v35, vcc, v33, v35, vcc
	global_store_dwordx4 v[34:35], v[70:73], off
	v_lshlrev_b64 v[34:35], 4, v[36:37]
	v_mov_b32_e32 v36, v39
	v_mad_u64_u32 v[36:37], s[4:5], s3, v44, v[36:37]
	v_add_co_u32_e32 v34, vcc, v32, v34
	v_addc_co_u32_e32 v35, vcc, v33, v35, vcc
	v_mov_b32_e32 v39, v36
	global_store_dwordx4 v[34:35], v[52:55], off
	v_lshlrev_b64 v[34:35], 4, v[38:39]
	v_add_u32_e32 v38, 0x5a0, v122
	;; [unrolled: 16-line block ×4, first 2 shown]
	v_mad_u64_u32 v[36:37], s[4:5], s2, v38, 0
	v_add_co_u32_e32 v34, vcc, v32, v34
	v_mad_u64_u32 v[37:38], s[4:5], s3, v38, v[37:38]
	v_add_u32_e32 v38, 0x2d0, v122
	v_mul_hi_u32 v39, v38, s1
	v_addc_co_u32_e32 v35, vcc, v33, v35, vcc
	global_store_dwordx4 v[34:35], v[28:31], off
	s_nop 0
	v_lshrrev_b32_e32 v30, 9, v39
	v_lshlrev_b64 v[28:29], 4, v[36:37]
	v_mad_u32_u24 v37, v30, s0, v38
	v_mad_u64_u32 v[30:31], s[4:5], s2, v37, 0
	v_add_u32_e32 v38, 0x384, v37
	v_add_co_u32_e32 v28, vcc, v32, v28
	v_mad_u64_u32 v[34:35], s[4:5], s3, v37, v[31:32]
	v_mad_u64_u32 v[35:36], s[4:5], s2, v38, 0
	v_addc_co_u32_e32 v29, vcc, v33, v29, vcc
	v_mov_b32_e32 v31, v34
	global_store_dwordx4 v[28:29], v[24:27], off
	s_nop 0
	v_lshlrev_b64 v[24:25], 4, v[30:31]
	v_mov_b32_e32 v26, v36
	v_add_co_u32_e32 v24, vcc, v32, v24
	v_mad_u64_u32 v[26:27], s[4:5], s3, v38, v[26:27]
	v_addc_co_u32_e32 v25, vcc, v33, v25, vcc
	global_store_dwordx4 v[24:25], v[20:23], off
	v_add_u32_e32 v24, 0x708, v37
	v_mad_u64_u32 v[22:23], s[4:5], s2, v24, 0
	v_add_u32_e32 v25, 0x32a, v122
	v_mov_b32_e32 v36, v26
	v_mul_hi_u32 v26, v25, s1
	v_lshlrev_b64 v[20:21], 4, v[35:36]
	v_mad_u64_u32 v[23:24], s[4:5], s3, v24, v[23:24]
	v_add_co_u32_e32 v20, vcc, v32, v20
	v_lshrrev_b32_e32 v24, 9, v26
	v_addc_co_u32_e32 v21, vcc, v33, v21, vcc
	v_mad_u32_u24 v26, v24, s0, v25
	v_mad_u64_u32 v[24:25], s[0:1], s2, v26, 0
	global_store_dwordx4 v[20:21], v[16:19], off
	s_nop 0
	v_lshlrev_b64 v[16:17], 4, v[22:23]
	v_mov_b32_e32 v18, v25
	v_add_co_u32_e32 v16, vcc, v32, v16
	v_addc_co_u32_e32 v17, vcc, v33, v17, vcc
	global_store_dwordx4 v[16:17], v[12:15], off
	v_add_u32_e32 v16, 0x384, v26
	v_mad_u64_u32 v[18:19], s[0:1], s3, v26, v[18:19]
	v_mad_u64_u32 v[14:15], s[0:1], s2, v16, 0
	v_mov_b32_e32 v25, v18
	v_add_u32_e32 v18, 0x708, v26
	v_mad_u64_u32 v[15:16], s[0:1], s3, v16, v[15:16]
	v_lshlrev_b64 v[12:13], 4, v[24:25]
	v_mad_u64_u32 v[16:17], s[0:1], s2, v18, 0
	v_add_co_u32_e32 v12, vcc, v32, v12
	v_addc_co_u32_e32 v13, vcc, v33, v13, vcc
	global_store_dwordx4 v[12:13], v[8:11], off
	s_nop 0
	v_mov_b32_e32 v10, v17
	v_mad_u64_u32 v[10:11], s[0:1], s3, v18, v[10:11]
	v_lshlrev_b64 v[8:9], 4, v[14:15]
	v_add_co_u32_e32 v8, vcc, v32, v8
	v_addc_co_u32_e32 v9, vcc, v33, v9, vcc
	v_mov_b32_e32 v17, v10
	global_store_dwordx4 v[8:9], v[4:7], off
	s_nop 0
	v_lshlrev_b64 v[4:5], 4, v[16:17]
	v_add_co_u32_e32 v4, vcc, v32, v4
	v_addc_co_u32_e32 v5, vcc, v33, v5, vcc
	global_store_dwordx4 v[4:5], v[0:3], off
.LBB0_15:
	s_endpgm
	.section	.rodata,"a",@progbits
	.p2align	6, 0x0
	.amdhsa_kernel fft_rtc_back_len2700_factors_3_10_10_3_3_wgs_90_tpt_90_halfLds_dp_ip_CI_sbrr_dirReg
		.amdhsa_group_segment_fixed_size 0
		.amdhsa_private_segment_fixed_size 0
		.amdhsa_kernarg_size 88
		.amdhsa_user_sgpr_count 6
		.amdhsa_user_sgpr_private_segment_buffer 1
		.amdhsa_user_sgpr_dispatch_ptr 0
		.amdhsa_user_sgpr_queue_ptr 0
		.amdhsa_user_sgpr_kernarg_segment_ptr 1
		.amdhsa_user_sgpr_dispatch_id 0
		.amdhsa_user_sgpr_flat_scratch_init 0
		.amdhsa_user_sgpr_private_segment_size 0
		.amdhsa_uses_dynamic_stack 0
		.amdhsa_system_sgpr_private_segment_wavefront_offset 0
		.amdhsa_system_sgpr_workgroup_id_x 1
		.amdhsa_system_sgpr_workgroup_id_y 0
		.amdhsa_system_sgpr_workgroup_id_z 0
		.amdhsa_system_sgpr_workgroup_info 0
		.amdhsa_system_vgpr_workitem_id 0
		.amdhsa_next_free_vgpr 249
		.amdhsa_next_free_sgpr 28
		.amdhsa_reserve_vcc 1
		.amdhsa_reserve_flat_scratch 0
		.amdhsa_float_round_mode_32 0
		.amdhsa_float_round_mode_16_64 0
		.amdhsa_float_denorm_mode_32 3
		.amdhsa_float_denorm_mode_16_64 3
		.amdhsa_dx10_clamp 1
		.amdhsa_ieee_mode 1
		.amdhsa_fp16_overflow 0
		.amdhsa_exception_fp_ieee_invalid_op 0
		.amdhsa_exception_fp_denorm_src 0
		.amdhsa_exception_fp_ieee_div_zero 0
		.amdhsa_exception_fp_ieee_overflow 0
		.amdhsa_exception_fp_ieee_underflow 0
		.amdhsa_exception_fp_ieee_inexact 0
		.amdhsa_exception_int_div_zero 0
	.end_amdhsa_kernel
	.text
.Lfunc_end0:
	.size	fft_rtc_back_len2700_factors_3_10_10_3_3_wgs_90_tpt_90_halfLds_dp_ip_CI_sbrr_dirReg, .Lfunc_end0-fft_rtc_back_len2700_factors_3_10_10_3_3_wgs_90_tpt_90_halfLds_dp_ip_CI_sbrr_dirReg
                                        ; -- End function
	.section	.AMDGPU.csdata,"",@progbits
; Kernel info:
; codeLenInByte = 23940
; NumSgprs: 32
; NumVgprs: 249
; ScratchSize: 0
; MemoryBound: 1
; FloatMode: 240
; IeeeMode: 1
; LDSByteSize: 0 bytes/workgroup (compile time only)
; SGPRBlocks: 3
; VGPRBlocks: 62
; NumSGPRsForWavesPerEU: 32
; NumVGPRsForWavesPerEU: 249
; Occupancy: 1
; WaveLimiterHint : 1
; COMPUTE_PGM_RSRC2:SCRATCH_EN: 0
; COMPUTE_PGM_RSRC2:USER_SGPR: 6
; COMPUTE_PGM_RSRC2:TRAP_HANDLER: 0
; COMPUTE_PGM_RSRC2:TGID_X_EN: 1
; COMPUTE_PGM_RSRC2:TGID_Y_EN: 0
; COMPUTE_PGM_RSRC2:TGID_Z_EN: 0
; COMPUTE_PGM_RSRC2:TIDIG_COMP_CNT: 0
	.type	__hip_cuid_c6654cc2304d2b2e,@object ; @__hip_cuid_c6654cc2304d2b2e
	.section	.bss,"aw",@nobits
	.globl	__hip_cuid_c6654cc2304d2b2e
__hip_cuid_c6654cc2304d2b2e:
	.byte	0                               ; 0x0
	.size	__hip_cuid_c6654cc2304d2b2e, 1

	.ident	"AMD clang version 19.0.0git (https://github.com/RadeonOpenCompute/llvm-project roc-6.4.0 25133 c7fe45cf4b819c5991fe208aaa96edf142730f1d)"
	.section	".note.GNU-stack","",@progbits
	.addrsig
	.addrsig_sym __hip_cuid_c6654cc2304d2b2e
	.amdgpu_metadata
---
amdhsa.kernels:
  - .args:
      - .actual_access:  read_only
        .address_space:  global
        .offset:         0
        .size:           8
        .value_kind:     global_buffer
      - .offset:         8
        .size:           8
        .value_kind:     by_value
      - .actual_access:  read_only
        .address_space:  global
        .offset:         16
        .size:           8
        .value_kind:     global_buffer
      - .actual_access:  read_only
        .address_space:  global
        .offset:         24
        .size:           8
        .value_kind:     global_buffer
      - .offset:         32
        .size:           8
        .value_kind:     by_value
      - .actual_access:  read_only
        .address_space:  global
        .offset:         40
        .size:           8
        .value_kind:     global_buffer
      - .actual_access:  read_only
        .address_space:  global
        .offset:         48
        .size:           8
        .value_kind:     global_buffer
      - .offset:         56
        .size:           4
        .value_kind:     by_value
      - .actual_access:  read_only
        .address_space:  global
        .offset:         64
        .size:           8
        .value_kind:     global_buffer
      - .actual_access:  read_only
        .address_space:  global
        .offset:         72
        .size:           8
        .value_kind:     global_buffer
      - .address_space:  global
        .offset:         80
        .size:           8
        .value_kind:     global_buffer
    .group_segment_fixed_size: 0
    .kernarg_segment_align: 8
    .kernarg_segment_size: 88
    .language:       OpenCL C
    .language_version:
      - 2
      - 0
    .max_flat_workgroup_size: 90
    .name:           fft_rtc_back_len2700_factors_3_10_10_3_3_wgs_90_tpt_90_halfLds_dp_ip_CI_sbrr_dirReg
    .private_segment_fixed_size: 0
    .sgpr_count:     32
    .sgpr_spill_count: 0
    .symbol:         fft_rtc_back_len2700_factors_3_10_10_3_3_wgs_90_tpt_90_halfLds_dp_ip_CI_sbrr_dirReg.kd
    .uniform_work_group_size: 1
    .uses_dynamic_stack: false
    .vgpr_count:     249
    .vgpr_spill_count: 0
    .wavefront_size: 64
amdhsa.target:   amdgcn-amd-amdhsa--gfx906
amdhsa.version:
  - 1
  - 2
...

	.end_amdgpu_metadata
